;; amdgpu-corpus repo=ROCm/rocFFT kind=compiled arch=gfx1100 opt=O3
	.text
	.amdgcn_target "amdgcn-amd-amdhsa--gfx1100"
	.amdhsa_code_object_version 6
	.protected	bluestein_single_back_len1280_dim1_sp_op_CI_CI ; -- Begin function bluestein_single_back_len1280_dim1_sp_op_CI_CI
	.globl	bluestein_single_back_len1280_dim1_sp_op_CI_CI
	.p2align	8
	.type	bluestein_single_back_len1280_dim1_sp_op_CI_CI,@function
bluestein_single_back_len1280_dim1_sp_op_CI_CI: ; @bluestein_single_back_len1280_dim1_sp_op_CI_CI
; %bb.0:
	s_load_b128 s[16:19], s[0:1], 0x28
	v_mul_u32_u24_e32 v1, 0x334, v0
	s_mov_b32 s2, exec_lo
	v_mov_b32_e32 v71, 0
	s_delay_alu instid0(VALU_DEP_2) | instskip(NEXT) | instid1(VALU_DEP_1)
	v_lshrrev_b32_e32 v1, 16, v1
	v_add_nc_u32_e32 v70, s15, v1
	s_waitcnt lgkmcnt(0)
	s_delay_alu instid0(VALU_DEP_1)
	v_cmpx_gt_u64_e64 s[16:17], v[70:71]
	s_cbranch_execz .LBB0_10
; %bb.1:
	s_clause 0x1
	s_load_b128 s[4:7], s[0:1], 0x18
	s_load_b128 s[8:11], s[0:1], 0x0
	v_mul_lo_u16 v1, 0x50, v1
	s_delay_alu instid0(VALU_DEP_1) | instskip(NEXT) | instid1(VALU_DEP_1)
	v_sub_nc_u16 v32, v0, v1
	v_and_b32_e32 v120, 0xffff, v32
	v_lshlrev_b16 v41, 4, v32
	s_waitcnt lgkmcnt(0)
	s_load_b128 s[12:15], s[4:5], 0x0
	s_waitcnt lgkmcnt(0)
	v_mad_u64_u32 v[0:1], null, s14, v70, 0
	v_mad_u64_u32 v[2:3], null, s12, v120, 0
	s_mul_hi_u32 s3, s12, 0x280
	s_mul_i32 s4, s12, 0x280
	s_delay_alu instid0(VALU_DEP_1) | instskip(NEXT) | instid1(VALU_DEP_1)
	v_mad_u64_u32 v[4:5], null, s15, v70, v[1:2]
	v_mov_b32_e32 v1, v4
	s_delay_alu instid0(VALU_DEP_3) | instskip(SKIP_2) | instid1(VALU_DEP_4)
	v_mad_u64_u32 v[5:6], null, s13, v120, v[3:4]
	v_lshlrev_b32_e32 v121, 3, v120
	v_or_b32_e32 v119, 0x280, v120
	v_lshlrev_b64 v[0:1], 3, v[0:1]
	s_delay_alu instid0(VALU_DEP_3) | instskip(SKIP_1) | instid1(VALU_DEP_3)
	v_add_co_u32 v23, s2, s8, v121
	v_mov_b32_e32 v3, v5
	v_add_co_u32 v19, vcc_lo, s18, v0
	s_delay_alu instid0(VALU_DEP_4) | instskip(NEXT) | instid1(VALU_DEP_3)
	v_add_co_ci_u32_e32 v20, vcc_lo, s19, v1, vcc_lo
	v_lshlrev_b64 v[2:3], 3, v[2:3]
	v_add_co_ci_u32_e64 v24, null, s9, 0, s2
	s_mul_i32 s2, s13, 0x280
	v_mad_u64_u32 v[0:1], null, s12, v119, 0
	s_delay_alu instid0(VALU_DEP_3) | instskip(NEXT) | instid1(VALU_DEP_4)
	v_add_co_u32 v2, vcc_lo, v19, v2
	v_add_co_ci_u32_e32 v3, vcc_lo, v20, v3, vcc_lo
	s_add_i32 s3, s3, s2
	s_delay_alu instid0(VALU_DEP_2) | instskip(NEXT) | instid1(VALU_DEP_2)
	v_add_co_u32 v4, vcc_lo, v2, s4
	v_add_co_ci_u32_e32 v5, vcc_lo, s3, v3, vcc_lo
	v_mad_u64_u32 v[10:11], null, s13, v119, v[1:2]
	s_delay_alu instid0(VALU_DEP_3) | instskip(NEXT) | instid1(VALU_DEP_3)
	v_add_co_u32 v6, vcc_lo, v4, s4
	v_add_co_ci_u32_e32 v7, vcc_lo, s3, v5, vcc_lo
	s_delay_alu instid0(VALU_DEP_2) | instskip(NEXT) | instid1(VALU_DEP_2)
	v_add_co_u32 v8, vcc_lo, v6, s4
	v_add_co_ci_u32_e32 v9, vcc_lo, s3, v7, vcc_lo
	v_mov_b32_e32 v1, v10
	s_delay_alu instid0(VALU_DEP_3) | instskip(NEXT) | instid1(VALU_DEP_3)
	v_add_co_u32 v11, vcc_lo, v8, s4
	v_add_co_ci_u32_e32 v12, vcc_lo, s3, v9, vcc_lo
	s_delay_alu instid0(VALU_DEP_3) | instskip(NEXT) | instid1(VALU_DEP_3)
	v_lshlrev_b64 v[0:1], 3, v[0:1]
	v_add_co_u32 v13, vcc_lo, v11, s4
	s_delay_alu instid0(VALU_DEP_3) | instskip(NEXT) | instid1(VALU_DEP_2)
	v_add_co_ci_u32_e32 v14, vcc_lo, s3, v12, vcc_lo
	v_add_co_u32 v15, vcc_lo, v13, s4
	s_delay_alu instid0(VALU_DEP_2) | instskip(NEXT) | instid1(VALU_DEP_2)
	v_add_co_ci_u32_e32 v16, vcc_lo, s3, v14, vcc_lo
	v_add_co_u32 v17, vcc_lo, v15, s4
	s_delay_alu instid0(VALU_DEP_2) | instskip(SKIP_2) | instid1(VALU_DEP_3)
	v_add_co_ci_u32_e32 v18, vcc_lo, s3, v16, vcc_lo
	v_add_co_u32 v0, vcc_lo, v19, v0
	v_add_co_ci_u32_e32 v1, vcc_lo, v20, v1, vcc_lo
	v_mad_u64_u32 v[19:20], null, 0x500, s12, v[17:18]
	v_add_co_u32 v21, vcc_lo, 0x1000, v23
	v_add_co_ci_u32_e32 v22, vcc_lo, 0, v24, vcc_lo
	v_add_co_u32 v23, vcc_lo, 0x2000, v23
	s_delay_alu instid0(VALU_DEP_4)
	v_mov_b32_e32 v10, v20
	s_clause 0x6
	global_load_b64 v[99:100], v121, s[8:9]
	global_load_b64 v[95:96], v121, s[8:9] offset:640
	global_load_b64 v[91:92], v121, s[8:9] offset:1280
	global_load_b64 v[89:90], v121, s[8:9] offset:1920
	global_load_b64 v[93:94], v121, s[8:9] offset:2560
	global_load_b64 v[87:88], v121, s[8:9] offset:3200
	global_load_b64 v[85:86], v121, s[8:9] offset:3840
	v_add_co_ci_u32_e32 v24, vcc_lo, 0, v24, vcc_lo
	v_mad_u64_u32 v[25:26], null, 0x500, s13, v[10:11]
	v_lshlrev_b32_e32 v43, 3, v119
	v_add_nc_u32_e32 v44, 0x800, v121
	s_delay_alu instid0(VALU_DEP_3)
	v_mov_b32_e32 v20, v25
	global_load_b64 v[71:72], v43, s[8:9]
	s_clause 0x4
	global_load_b64 v[2:3], v[2:3], off
	global_load_b64 v[0:1], v[0:1], off
	;; [unrolled: 1-line block ×5, first 2 shown]
	s_clause 0x3
	global_load_b64 v[97:98], v[21:22], off offset:384
	global_load_b64 v[83:84], v[21:22], off offset:1664
	;; [unrolled: 1-line block ×4, first 2 shown]
	global_load_b64 v[10:11], v[11:12], off
	global_load_b64 v[75:76], v[21:22], off offset:3584
	global_load_b64 v[12:13], v[13:14], off
	global_load_b64 v[68:69], v[23:24], off offset:128
	global_load_b64 v[14:15], v[15:16], off
	v_add_co_u32 v21, vcc_lo, v19, s4
	v_add_co_ci_u32_e32 v22, vcc_lo, s3, v20, vcc_lo
	global_load_b64 v[16:17], v[17:18], off
	v_add_co_u32 v25, vcc_lo, v21, s4
	v_add_co_ci_u32_e32 v26, vcc_lo, s3, v22, vcc_lo
	;; [unrolled: 3-line block ×6, first 2 shown]
	global_load_b64 v[29:30], v[29:30], off
	global_load_b64 v[33:34], v[33:34], off
	s_clause 0x1
	global_load_b64 v[77:78], v[23:24], off offset:768
	global_load_b64 v[79:80], v[23:24], off offset:1408
	global_load_b64 v[22:23], v[35:36], off
	v_add_nc_u32_e32 v46, 0x1800, v121
	v_add_nc_u32_e32 v45, 0x1000, v121
	;; [unrolled: 1-line block ×5, first 2 shown]
	s_load_b128 s[4:7], s[6:7], 0x0
	s_load_b64 s[2:3], s[0:1], 0x38
	v_cmp_gt_u16_e32 vcc_lo, 16, v32
                                        ; kill: def $vgpr32 killed $sgpr0 killed $exec
	s_waitcnt vmcnt(23)
	v_mul_f32_e32 v35, v3, v100
	s_waitcnt vmcnt(22)
	v_mul_f32_e32 v37, v1, v72
	v_mul_f32_e32 v36, v2, v100
	;; [unrolled: 1-line block ×3, first 2 shown]
	s_waitcnt vmcnt(21)
	v_dual_mul_f32 v40, v4, v96 :: v_dual_fmac_f32 v35, v2, v99
	s_waitcnt vmcnt(19)
	v_dual_fmac_f32 v37, v0, v71 :: v_dual_mul_f32 v2, v9, v90
	v_mul_f32_e32 v0, v7, v92
	v_mul_f32_e32 v39, v5, v96
	v_fma_f32 v36, v3, v99, -v36
	v_fma_f32 v40, v5, v95, -v40
	v_dual_fmac_f32 v2, v8, v89 :: v_dual_mul_f32 v3, v6, v92
	v_fmac_f32_e32 v0, v6, v91
	s_waitcnt vmcnt(12)
	v_dual_mul_f32 v5, v10, v94 :: v_dual_mul_f32 v6, v13, v88
	v_dual_fmac_f32 v39, v4, v95 :: v_dual_mul_f32 v4, v11, v94
	v_fma_f32 v38, v1, v71, -v38
	s_delay_alu instid0(VALU_DEP_3) | instskip(NEXT) | instid1(VALU_DEP_4)
	v_fma_f32 v5, v11, v93, -v5
	v_fmac_f32_e32 v6, v12, v87
	v_fma_f32 v1, v7, v91, -v3
	v_dual_mul_f32 v3, v8, v90 :: v_dual_fmac_f32 v4, v10, v93
	s_waitcnt vmcnt(10)
	v_dual_mul_f32 v7, v12, v88 :: v_dual_mul_f32 v8, v15, v86
	ds_store_2addr_b64 v121, v[35:36], v[39:40] offset1:80
	v_fma_f32 v3, v9, v89, -v3
	v_fma_f32 v7, v13, v87, -v7
	v_fmac_f32_e32 v8, v14, v85
	s_waitcnt vmcnt(5)
	v_mul_f32_e32 v10, v28, v76
	ds_store_2addr_b64 v121, v[0:1], v[2:3] offset0:160 offset1:240
	v_mul_f32_e32 v2, v19, v84
	v_dual_mul_f32 v0, v17, v98 :: v_dual_mul_f32 v3, v18, v84
	v_mul_f32_e32 v9, v14, v86
	ds_store_2addr_b64 v44, v[4:5], v[6:7] offset0:64 offset1:144
	v_mul_f32_e32 v1, v16, v98
	v_fmac_f32_e32 v0, v16, v97
	v_dual_mul_f32 v4, v21, v82 :: v_dual_mul_f32 v11, v27, v76
	s_waitcnt vmcnt(4)
	v_dual_mul_f32 v6, v26, v74 :: v_dual_mul_f32 v13, v29, v69
	s_waitcnt vmcnt(2)
	v_mul_f32_e32 v14, v34, v78
	v_dual_mul_f32 v5, v20, v82 :: v_dual_fmac_f32 v2, v18, v83
	v_dual_mul_f32 v7, v25, v74 :: v_dual_mul_f32 v12, v30, v69
	v_fma_f32 v9, v15, v85, -v9
	v_fma_f32 v1, v17, v97, -v1
	v_dual_fmac_f32 v4, v20, v81 :: v_dual_mul_f32 v15, v33, v78
	s_waitcnt vmcnt(0)
	v_dual_fmac_f32 v6, v25, v73 :: v_dual_mul_f32 v17, v22, v80
	v_mul_f32_e32 v16, v23, v80
	v_fmac_f32_e32 v14, v33, v77
	v_and_b32_e32 v33, 0xffff, v41
	v_fma_f32 v3, v19, v83, -v3
	v_fma_f32 v5, v21, v81, -v5
	;; [unrolled: 1-line block ×3, first 2 shown]
	v_fmac_f32_e32 v10, v27, v75
	v_fma_f32 v11, v28, v75, -v11
	v_fmac_f32_e32 v12, v29, v68
	v_fma_f32 v13, v30, v68, -v13
	v_fma_f32 v15, v34, v77, -v15
	v_fmac_f32_e32 v16, v22, v79
	v_fma_f32 v17, v23, v79, -v17
	v_lshlrev_b32_e32 v42, 3, v33
	v_add_nc_u32_e32 v33, 0x400, v121
	ds_store_2addr_b64 v24, v[8:9], v[0:1] offset0:96 offset1:176
	ds_store_2addr_b64 v45, v[37:38], v[2:3] offset0:128 offset1:208
	;; [unrolled: 1-line block ×5, first 2 shown]
	s_waitcnt lgkmcnt(0)
	s_barrier
	buffer_gl0_inv
	ds_load_2addr_b64 v[0:3], v121 offset1:80
	ds_load_2addr_b64 v[4:7], v45 offset0:128 offset1:208
	ds_load_2addr_b64 v[8:11], v44 offset0:64 offset1:144
	;; [unrolled: 1-line block ×7, first 2 shown]
	s_waitcnt lgkmcnt(0)
	s_barrier
	buffer_gl0_inv
	v_sub_f32_e32 v5, v1, v5
	v_sub_f32_e32 v7, v3, v7
	;; [unrolled: 1-line block ×3, first 2 shown]
	v_dual_sub_f32 v15, v11, v15 :: v_dual_sub_f32 v4, v0, v4
	s_delay_alu instid0(VALU_DEP_4) | instskip(SKIP_1) | instid1(VALU_DEP_4)
	v_fma_f32 v1, v1, 2.0, -v5
	v_sub_f32_e32 v29, v25, v29
	v_fma_f32 v9, v9, 2.0, -v13
	v_fma_f32 v3, v3, 2.0, -v7
	;; [unrolled: 1-line block ×3, first 2 shown]
	v_dual_sub_f32 v20, v16, v20 :: v_dual_sub_f32 v21, v17, v21
	s_delay_alu instid0(VALU_DEP_4) | instskip(NEXT) | instid1(VALU_DEP_3)
	v_dual_sub_f32 v9, v1, v9 :: v_dual_sub_f32 v14, v10, v14
	v_dual_sub_f32 v22, v18, v22 :: v_dual_sub_f32 v11, v3, v11
	;; [unrolled: 1-line block ×4, first 2 shown]
	v_sub_f32_e32 v23, v19, v23
	v_fma_f32 v0, v0, 2.0, -v4
	v_fma_f32 v17, v17, 2.0, -v21
	;; [unrolled: 1-line block ×3, first 2 shown]
	v_sub_f32_e32 v28, v24, v28
	v_fma_f32 v27, v27, 2.0, -v31
	v_sub_f32_e32 v29, v20, v29
	v_fma_f32 v10, v10, 2.0, -v14
	v_dual_sub_f32 v25, v17, v25 :: v_dual_add_f32 v14, v7, v14
	v_sub_f32_e32 v31, v22, v31
	s_delay_alu instid0(VALU_DEP_4)
	v_fmamk_f32 v35, v29, 0x3f3504f3, v13
	v_fma_f32 v8, v8, 2.0, -v12
	v_dual_sub_f32 v15, v6, v15 :: v_dual_add_nc_u32 v34, 0x1400, v121
	v_fma_f32 v24, v24, 2.0, -v28
	v_fma_f32 v19, v19, 2.0, -v23
	v_sub_f32_e32 v30, v26, v30
	s_delay_alu instid0(VALU_DEP_4)
	v_dual_add_f32 v12, v5, v12 :: v_dual_fmamk_f32 v37, v31, 0x3f3504f3, v15
	v_fma_f32 v7, v7, 2.0, -v14
	v_sub_f32_e32 v8, v0, v8
	v_add_f32_e32 v28, v21, v28
	v_fma_f32 v16, v16, 2.0, -v20
	v_fma_f32 v2, v2, 2.0, -v6
	;; [unrolled: 1-line block ×3, first 2 shown]
	v_sub_f32_e32 v27, v19, v27
	v_fma_f32 v26, v26, 2.0, -v30
	v_fma_f32 v40, v1, 2.0, -v9
	;; [unrolled: 1-line block ×3, first 2 shown]
	v_sub_f32_e32 v25, v8, v25
	v_fma_f32 v21, v21, 2.0, -v28
	v_add_f32_e32 v30, v23, v30
	v_fma_f32 v20, v20, 2.0, -v29
	v_dual_sub_f32 v10, v2, v10 :: v_dual_fmac_f32 v35, 0xbf3504f3, v28
	v_sub_f32_e32 v24, v16, v24
	v_fma_f32 v17, v3, 2.0, -v11
	v_fma_f32 v3, v19, 2.0, -v27
	s_delay_alu instid0(VALU_DEP_4)
	v_sub_f32_e32 v27, v10, v27
	v_fmamk_f32 v19, v21, 0xbf3504f3, v5
	v_fma_f32 v23, v23, 2.0, -v30
	v_fmamk_f32 v36, v28, 0x3f3504f3, v12
	v_fma_f32 v18, v18, 2.0, -v22
	v_fma_f32 v4, v4, 2.0, -v13
	v_fmac_f32_e32 v19, 0x3f3504f3, v20
	v_fma_f32 v22, v22, 2.0, -v31
	v_fmac_f32_e32 v36, 0x3f3504f3, v29
	v_fmamk_f32 v29, v23, 0xbf3504f3, v7
	v_fma_f32 v39, v0, 2.0, -v8
	v_fma_f32 v0, v16, 2.0, -v24
	;; [unrolled: 1-line block ×3, first 2 shown]
	v_fmamk_f32 v38, v30, 0x3f3504f3, v14
	v_fma_f32 v41, v8, 2.0, -v25
	v_sub_f32_e32 v8, v17, v3
	v_sub_f32_e32 v26, v18, v26
	v_fma_f32 v49, v13, 2.0, -v35
	v_fma_f32 v6, v6, 2.0, -v15
	v_dual_add_f32 v24, v9, v24 :: v_dual_fmac_f32 v29, 0x3f3504f3, v22
	v_fma_f32 v13, v17, 2.0, -v8
	v_dual_fmac_f32 v38, 0x3f3504f3, v31 :: v_dual_sub_f32 v31, v40, v1
	v_fma_f32 v2, v18, 2.0, -v26
	v_dual_fmamk_f32 v18, v20, 0xbf3504f3, v4 :: v_dual_fmac_f32 v37, 0xbf3504f3, v30
	v_fma_f32 v48, v9, 2.0, -v24
	s_delay_alu instid0(VALU_DEP_4) | instskip(NEXT) | instid1(VALU_DEP_4)
	v_fma_f32 v40, v40, 2.0, -v31
	v_dual_sub_f32 v9, v16, v2 :: v_dual_fmamk_f32 v28, v22, 0xbf3504f3, v6
	s_delay_alu instid0(VALU_DEP_4) | instskip(SKIP_1) | instid1(VALU_DEP_4)
	v_fmac_f32_e32 v18, 0xbf3504f3, v21
	v_fma_f32 v20, v10, 2.0, -v27
	v_dual_sub_f32 v13, v40, v13 :: v_dual_add_f32 v26, v11, v26
	v_sub_f32_e32 v30, v39, v0
	v_fma_f32 v22, v15, 2.0, -v37
	v_fma_f32 v51, v4, 2.0, -v18
	;; [unrolled: 1-line block ×3, first 2 shown]
	v_fmamk_f32 v1, v26, 0x3f3504f3, v24
	v_fma_f32 v39, v39, 2.0, -v30
	v_fma_f32 v54, v7, 2.0, -v29
	v_fmamk_f32 v0, v27, 0x3f3504f3, v25
	v_fmamk_f32 v2, v37, 0x3f6c835e, v35
	v_fmac_f32_e32 v1, 0x3f3504f3, v27
	v_fma_f32 v50, v12, 2.0, -v36
	v_fma_f32 v12, v16, 2.0, -v9
	v_dual_add_f32 v9, v31, v9 :: v_dual_fmac_f32 v28, 0xbf3504f3, v23
	v_fma_f32 v23, v14, 2.0, -v38
	v_fmamk_f32 v3, v38, 0x3f6c835e, v36
	v_fma_f32 v21, v11, 2.0, -v26
	v_fmamk_f32 v11, v29, 0x3ec3ef15, v19
	v_fma_f32 v53, v6, 2.0, -v28
	v_dual_fmamk_f32 v7, v23, 0xbec3ef15, v50 :: v_dual_sub_f32 v8, v30, v8
	v_dual_fmamk_f32 v10, v28, 0x3ec3ef15, v18 :: v_dual_fmac_f32 v3, 0x3ec3ef15, v37
	v_dual_fmamk_f32 v4, v20, 0xbf3504f3, v41 :: v_dual_fmamk_f32 v5, v21, 0xbf3504f3, v48
	v_fmamk_f32 v6, v22, 0xbec3ef15, v49
	v_dual_sub_f32 v12, v39, v12 :: v_dual_fmamk_f32 v15, v54, 0xbf6c835e, v52
	v_fmamk_f32 v14, v53, 0xbf6c835e, v51
	v_fmac_f32_e32 v10, 0xbf6c835e, v29
	v_fmac_f32_e32 v11, 0x3f6c835e, v28
	;; [unrolled: 1-line block ×10, first 2 shown]
	v_fma_f32 v16, v30, 2.0, -v8
	v_fma_f32 v17, v31, 2.0, -v9
	;; [unrolled: 1-line block ×16, first 2 shown]
	ds_store_b128 v42, v[8:11] offset:96
	ds_store_b128 v42, v[0:3] offset:112
	;; [unrolled: 1-line block ×6, first 2 shown]
	ds_store_b128 v42, v[24:27]
	ds_store_b128 v42, v[28:31] offset:16
	s_waitcnt lgkmcnt(0)
	s_barrier
	buffer_gl0_inv
	ds_load_2addr_b64 v[8:11], v121 offset1:80
	ds_load_2addr_b64 v[4:7], v33 offset0:32 offset1:128
	ds_load_2addr_b64 v[16:19], v45 offset1:80
	ds_load_2addr_b64 v[12:15], v34 offset0:32 offset1:128
	;; [unrolled: 2-line block ×3, first 2 shown]
	ds_load_2addr_b64 v[20:23], v46 offset0:80 offset1:160
	ds_load_b64 v[0:1], v121 offset:9472
                                        ; implicit-def: $vgpr34
                                        ; implicit-def: $vgpr36
                                        ; implicit-def: $vgpr40
	s_and_saveexec_b32 s0, vcc_lo
	s_cbranch_execz .LBB0_3
; %bb.2:
	v_add_nc_u32_e32 v2, 0x180, v121
	ds_load_2addr_stride64_b64 v[32:35], v2 offset0:3 offset1:7
	ds_load_b64 v[40:41], v121 offset:10112
	ds_load_2addr_stride64_b64 v[36:39], v2 offset0:11 offset1:15
	s_waitcnt lgkmcnt(2)
	v_dual_mov_b32 v3, v33 :: v_dual_mov_b32 v2, v32
.LBB0_3:
	s_or_b32 exec_lo, exec_lo, s0
	v_lshlrev_b32_e32 v32, 5, v120
	v_lshrrev_b32_e32 v45, 4, v120
	s_delay_alu instid0(VALU_DEP_2) | instskip(NEXT) | instid1(VALU_DEP_2)
	v_and_b32_e32 v32, 0x1e0, v32
	v_mul_u32_u24_e32 v45, 0x50, v45
	s_clause 0x3
	global_load_b64 v[101:102], v32, s[10:11]
	global_load_b64 v[107:108], v32, s[10:11] offset:8
	global_load_b64 v[103:104], v32, s[10:11] offset:16
	;; [unrolled: 1-line block ×3, first 2 shown]
	s_waitcnt vmcnt(3) lgkmcnt(6)
	v_dual_mul_f32 v46, v7, v102 :: v_dual_and_b32 v33, 15, v120
	s_waitcnt vmcnt(2) lgkmcnt(5)
	s_delay_alu instid0(VALU_DEP_1)
	v_dual_mul_f32 v49, v16, v108 :: v_dual_lshlrev_b32 v44, 5, v33
	s_waitcnt vmcnt(0) lgkmcnt(3)
	v_mul_f32_e32 v53, v24, v106
	s_clause 0x4
	global_load_b64 v[109:110], v32, s[10:11] offset:4
	global_load_b64 v[113:114], v32, s[10:11] offset:12
	;; [unrolled: 1-line block ×3, first 2 shown]
	global_load_b32 v122, v32, s[10:11] offset:28
	global_load_b32 v126, v44, s[10:11]
	s_waitcnt lgkmcnt(2)
	v_dual_mul_f32 v55, v28, v102 :: v_dual_add_nc_u32 v32, 0x50, v120
	v_dual_mul_f32 v61, v26, v106 :: v_dual_add_nc_u32 v44, 0xa0, v120
	v_or_b32_e32 v45, v45, v33
	s_delay_alu instid0(VALU_DEP_3) | instskip(SKIP_1) | instid1(VALU_DEP_4)
	v_lshrrev_b32_e32 v32, 4, v32
	v_mul_f32_e32 v47, v6, v102
	v_lshrrev_b32_e32 v44, 4, v44
	s_delay_alu instid0(VALU_DEP_4) | instskip(NEXT) | instid1(VALU_DEP_4)
	v_dual_mul_f32 v48, v17, v108 :: v_dual_lshlrev_b32 v125, 3, v45
	v_mul_u32_u24_e32 v32, 0x50, v32
	v_dual_mul_f32 v51, v14, v104 :: v_dual_mul_f32 v52, v25, v106
	s_delay_alu instid0(VALU_DEP_4) | instskip(SKIP_1) | instid1(VALU_DEP_4)
	v_mul_u32_u24_e32 v44, 0x50, v44
	v_dual_mul_f32 v54, v29, v102 :: v_dual_mul_f32 v57, v18, v108
	v_or_b32_e32 v32, v32, v33
	v_mul_f32_e32 v50, v15, v104
	s_delay_alu instid0(VALU_DEP_4) | instskip(SKIP_3) | instid1(VALU_DEP_3)
	v_or_b32_e32 v33, v44, v33
	s_waitcnt lgkmcnt(0)
	v_dual_mul_f32 v56, v19, v108 :: v_dual_mul_f32 v115, v1, v106
	v_dual_mul_f32 v63, v30, v102 :: v_dual_lshlrev_b32 v124, 3, v32
	v_dual_mul_f32 v58, v21, v104 :: v_dual_lshlrev_b32 v123, 3, v33
	v_dual_mul_f32 v59, v20, v104 :: v_dual_mul_f32 v60, v27, v106
	v_dual_mul_f32 v62, v31, v102 :: v_dual_mul_f32 v65, v12, v108
	v_mul_f32_e32 v64, v13, v108
	v_mul_f32_e32 v66, v23, v104
	v_dual_mul_f32 v67, v22, v104 :: v_dual_mul_f32 v116, v0, v106
	s_waitcnt vmcnt(0)
	s_barrier
	buffer_gl0_inv
	v_dual_mul_f32 v44, v38, v111 :: v_dual_mul_f32 v117, v35, v109
	v_fmac_f32_e32 v47, v7, v126
	v_mul_f32_e32 v45, v34, v109
	v_dual_mul_f32 v118, v37, v113 :: v_dual_mul_f32 v127, v39, v111
	v_dual_mul_f32 v33, v36, v113 :: v_dual_mul_f32 v128, v41, v122
	v_dual_fmac_f32 v61, v27, v112 :: v_dual_mul_f32 v32, v40, v122
	v_fmac_f32_e32 v53, v25, v112
	v_fma_f32 v46, v6, v126, -v46
	v_fma_f32 v16, v16, v110, -v48
	v_dual_fmac_f32 v49, v17, v110 :: v_dual_fmac_f32 v44, v39, v103
	v_fma_f32 v48, v14, v114, -v50
	v_dual_fmac_f32 v51, v15, v114 :: v_dual_fmac_f32 v116, v1, v112
	v_fma_f32 v50, v24, v112, -v52
	v_fma_f32 v14, v28, v126, -v54
	v_fmac_f32_e32 v55, v29, v126
	v_fma_f32 v15, v18, v110, -v56
	v_dual_fmac_f32 v57, v19, v110 :: v_dual_fmac_f32 v32, v41, v105
	v_fma_f32 v24, v20, v114, -v58
	v_fmac_f32_e32 v59, v21, v114
	v_fma_f32 v52, v26, v112, -v60
	v_fma_f32 v17, v30, v126, -v62
	v_fmac_f32_e32 v63, v31, v126
	v_fma_f32 v18, v12, v110, -v64
	v_dual_fmac_f32 v65, v13, v110 :: v_dual_sub_f32 v28, v47, v49
	v_fma_f32 v25, v22, v114, -v66
	v_dual_fmac_f32 v67, v23, v114 :: v_dual_add_f32 v26, v9, v47
	v_fma_f32 v54, v0, v112, -v115
	v_fma_f32 v1, v34, v101, -v117
	v_dual_fmac_f32 v45, v35, v101 :: v_dual_add_f32 v12, v8, v46
	v_fma_f32 v6, v36, v107, -v118
	v_dual_fmac_f32 v33, v37, v107 :: v_dual_sub_f32 v22, v16, v46
	v_fma_f32 v7, v38, v103, -v127
	v_fma_f32 v0, v40, v105, -v128
	v_dual_add_f32 v13, v16, v48 :: v_dual_add_f32 v30, v47, v53
	v_dual_sub_f32 v40, v49, v51 :: v_dual_sub_f32 v19, v46, v16
	v_sub_f32_e32 v34, v51, v53
	v_sub_f32_e32 v20, v50, v48
	v_dual_add_f32 v21, v46, v50 :: v_dual_add_f32 v36, v15, v24
	v_dual_sub_f32 v23, v48, v50 :: v_dual_add_f32 v58, v14, v52
	v_dual_add_f32 v27, v49, v51 :: v_dual_sub_f32 v38, v52, v24
	v_dual_sub_f32 v41, v46, v50 :: v_dual_sub_f32 v62, v24, v52
	v_dual_sub_f32 v46, v16, v48 :: v_dual_sub_f32 v39, v47, v53
	v_sub_f32_e32 v56, v57, v59
	v_dual_sub_f32 v29, v53, v51 :: v_dual_sub_f32 v60, v15, v14
	v_dual_sub_f32 v31, v49, v47 :: v_dual_add_f32 v128, v55, v61
	v_dual_add_f32 v35, v10, v14 :: v_dual_add_f32 v64, v11, v55
	v_dual_sub_f32 v47, v55, v61 :: v_dual_add_f32 v66, v57, v59
	v_dual_sub_f32 v37, v14, v15 :: v_dual_add_f32 v130, v4, v17
	v_dual_sub_f32 v115, v14, v52 :: v_dual_sub_f32 v118, v61, v59
	v_dual_sub_f32 v127, v15, v24 :: v_dual_sub_f32 v134, v17, v18
	v_dual_sub_f32 v117, v55, v57 :: v_dual_add_f32 v136, v17, v54
	v_dual_add_f32 v131, v18, v25 :: v_dual_add_f32 v140, v65, v67
	v_dual_sub_f32 v135, v54, v25 :: v_dual_sub_f32 v144, v116, v67
	v_dual_add_f32 v139, v5, v63 :: v_dual_sub_f32 v154, v7, v0
	v_dual_sub_f32 v143, v63, v65 :: v_dual_sub_f32 v148, v45, v32
	v_dual_add_f32 v145, v63, v116 :: v_dual_sub_f32 v150, v1, v6
	v_dual_add_f32 v147, v6, v7 :: v_dual_add_f32 v152, v1, v0
	v_dual_sub_f32 v153, v6, v1 :: v_dual_add_f32 v160, v45, v32
	v_add_f32_e32 v155, v33, v44
	v_dual_sub_f32 v55, v57, v55 :: v_dual_sub_f32 v132, v63, v116
	v_dual_sub_f32 v129, v59, v61 :: v_dual_sub_f32 v138, v25, v54
	;; [unrolled: 1-line block ×5, first 2 shown]
	v_dual_sub_f32 v63, v65, v63 :: v_dual_add_f32 v164, v19, v20
	v_dual_sub_f32 v149, v33, v44 :: v_dual_add_f32 v166, v31, v34
	v_dual_sub_f32 v151, v0, v7 :: v_dual_sub_f32 v156, v1, v0
	v_dual_sub_f32 v157, v6, v7 :: v_dual_sub_f32 v158, v45, v33
	v_sub_f32_e32 v159, v32, v44
	v_sub_f32_e32 v161, v33, v45
	v_add_f32_e32 v163, v12, v16
	v_fma_f32 v12, -0.5, v13, v8
	v_fma_f32 v8, -0.5, v21, v8
	v_add_f32_e32 v165, v22, v23
	v_add_f32_e32 v19, v26, v49
	v_fma_f32 v13, -0.5, v27, v9
	v_fma_f32 v9, -0.5, v30, v9
	v_add_f32_e32 v22, v35, v15
	v_fma_f32 v14, -0.5, v36, v10
	v_fma_f32 v10, -0.5, v58, v10
	v_add_f32_e32 v58, v60, v62
	v_fma_f32 v15, -0.5, v66, v11
	v_dual_fmac_f32 v11, -0.5, v128 :: v_dual_add_f32 v30, v130, v18
	v_fma_f32 v16, -0.5, v131, v4
	v_dual_add_f32 v60, v134, v135 :: v_dual_add_f32 v23, v64, v57
	v_dual_add_f32 v57, v117, v118 :: v_dual_fmamk_f32 v18, v39, 0x3f737871, v12
	v_fma_f32 v4, -0.5, v136, v4
	v_add_f32_e32 v31, v139, v65
	v_fma_f32 v17, -0.5, v140, v5
	v_dual_add_f32 v64, v143, v144 :: v_dual_fmac_f32 v5, -0.5, v145
	v_fma_f32 v117, -0.5, v147, v2
	v_fma_f32 v26, -0.5, v152, v2
	;; [unrolled: 1-line block ×4, first 2 shown]
	v_dual_add_f32 v49, v28, v29 :: v_dual_add_f32 v66, v153, v154
	v_dual_add_f32 v167, v37, v38 :: v_dual_add_f32 v128, v158, v159
	v_dual_add_f32 v55, v55, v129 :: v_dual_fmamk_f32 v20, v40, 0xbf737871, v8
	v_add_f32_e32 v38, v163, v48
	v_fmac_f32_e32 v12, 0xbf737871, v39
	v_fmac_f32_e32 v8, 0x3f737871, v40
	v_dual_add_f32 v48, v19, v51 :: v_dual_fmamk_f32 v19, v41, 0xbf737871, v13
	v_add_f32_e32 v130, v30, v25
	v_fmac_f32_e32 v13, 0x3f737871, v41
	v_dual_add_f32 v51, v22, v24 :: v_dual_fmamk_f32 v36, v133, 0xbf737871, v4
	v_dual_add_f32 v59, v23, v59 :: v_dual_fmac_f32 v4, 0x3f737871, v133
	v_dual_fmamk_f32 v23, v115, 0xbf737871, v15 :: v_dual_fmamk_f32 v24, v149, 0xbf737871, v26
	v_dual_fmac_f32 v15, 0x3f737871, v115 :: v_dual_fmac_f32 v26, 0x3f737871, v149
	v_fmamk_f32 v29, v127, 0x3f737871, v11
	v_dual_add_f32 v67, v31, v67 :: v_dual_fmamk_f32 v34, v148, 0x3f737871, v117
	v_fmamk_f32 v31, v141, 0xbf737871, v17
	v_fmac_f32_e32 v17, 0x3f737871, v141
	v_fmamk_f32 v37, v142, 0x3f737871, v5
	v_fmac_f32_e32 v5, 0xbf737871, v142
	v_fmac_f32_e32 v117, 0xbf737871, v148
	v_fmamk_f32 v35, v156, 0xbf737871, v118
	v_dual_fmac_f32 v118, 0x3f737871, v156 :: v_dual_fmamk_f32 v25, v157, 0x3f737871, v27
	v_fmac_f32_e32 v27, 0xbf737871, v157
	v_dual_fmamk_f32 v21, v46, 0x3f737871, v9 :: v_dual_fmamk_f32 v30, v132, 0x3f737871, v16
	v_dual_fmac_f32 v9, 0xbf737871, v46 :: v_dual_fmac_f32 v16, 0xbf737871, v132
	v_dual_add_f32 v65, v150, v151 :: v_dual_fmamk_f32 v22, v47, 0x3f737871, v14
	v_dual_add_f32 v129, v161, v162 :: v_dual_fmamk_f32 v28, v56, 0xbf737871, v10
	v_fmac_f32_e32 v10, 0x3f737871, v56
	v_dual_fmac_f32 v11, 0xbf737871, v127 :: v_dual_add_f32 v38, v38, v50
	v_dual_add_f32 v63, v63, v146 :: v_dual_fmac_f32 v14, 0xbf737871, v47
	v_fmac_f32_e32 v18, 0x3f167918, v40
	v_dual_fmac_f32 v12, 0xbf167918, v40 :: v_dual_fmac_f32 v19, 0xbf167918, v46
	v_dual_fmac_f32 v20, 0x3f167918, v39 :: v_dual_fmac_f32 v13, 0x3f167918, v46
	v_add_f32_e32 v46, v130, v54
	v_dual_fmac_f32 v17, 0x3f167918, v142 :: v_dual_fmac_f32 v34, 0x3f167918, v149
	v_dual_fmac_f32 v37, 0xbf167918, v141 :: v_dual_fmac_f32 v26, 0xbf167918, v148
	;; [unrolled: 1-line block ×3, first 2 shown]
	v_fmac_f32_e32 v117, 0xbf167918, v149
	v_fmac_f32_e32 v35, 0xbf167918, v157
	v_dual_fmac_f32 v118, 0x3f167918, v157 :: v_dual_fmac_f32 v27, 0x3f167918, v156
	v_dual_fmac_f32 v25, 0xbf167918, v156 :: v_dual_fmac_f32 v8, 0xbf167918, v39
	v_fmac_f32_e32 v21, 0xbf167918, v41
	v_dual_fmac_f32 v9, 0x3f167918, v41 :: v_dual_fmac_f32 v22, 0x3f167918, v56
	v_dual_fmac_f32 v23, 0xbf167918, v127 :: v_dual_fmac_f32 v16, 0xbf167918, v133
	v_add_f32_e32 v40, v51, v52
	v_fmac_f32_e32 v28, 0x3f167918, v47
	v_dual_fmac_f32 v10, 0xbf167918, v47 :: v_dual_fmac_f32 v31, 0xbf167918, v142
	v_dual_fmac_f32 v29, 0xbf167918, v115 :: v_dual_fmac_f32 v4, 0xbf167918, v132
	;; [unrolled: 1-line block ×3, first 2 shown]
	v_dual_add_f32 v62, v137, v138 :: v_dual_add_f32 v39, v48, v53
	v_dual_fmac_f32 v14, 0xbf167918, v56 :: v_dual_add_f32 v41, v59, v61
	v_dual_fmac_f32 v15, 0x3f167918, v127 :: v_dual_fmac_f32 v30, 0x3f167918, v133
	v_dual_fmac_f32 v18, 0x3e9e377a, v164 :: v_dual_fmac_f32 v19, 0x3e9e377a, v49
	;; [unrolled: 1-line block ×10, first 2 shown]
	v_dual_add_f32 v47, v67, v116 :: v_dual_fmac_f32 v28, 0x3e9e377a, v58
	v_dual_fmac_f32 v29, 0x3e9e377a, v55 :: v_dual_fmac_f32 v10, 0x3e9e377a, v58
	v_fmac_f32_e32 v11, 0x3e9e377a, v55
	v_dual_fmac_f32 v14, 0x3e9e377a, v167 :: v_dual_fmac_f32 v15, 0x3e9e377a, v57
	v_dual_fmac_f32 v30, 0x3e9e377a, v60 :: v_dual_fmac_f32 v37, 0x3e9e377a, v63
	;; [unrolled: 1-line block ×5, first 2 shown]
	ds_store_2addr_b64 v125, v[38:39], v[18:19] offset1:16
	ds_store_2addr_b64 v125, v[20:21], v[8:9] offset0:32 offset1:48
	ds_store_b64 v125, v[12:13] offset:512
	ds_store_2addr_b64 v124, v[40:41], v[22:23] offset1:16
	ds_store_2addr_b64 v124, v[28:29], v[10:11] offset0:32 offset1:48
	ds_store_b64 v124, v[14:15] offset:512
	;; [unrolled: 3-line block ×3, first 2 shown]
	s_and_saveexec_b32 s0, vcc_lo
	s_cbranch_execz .LBB0_5
; %bb.4:
	v_add_f32_e32 v3, v3, v45
	v_add_f32_e32 v1, v2, v1
	v_add_nc_u32_e32 v4, 0x2000, v121
	s_delay_alu instid0(VALU_DEP_2) | instskip(NEXT) | instid1(VALU_DEP_1)
	v_dual_add_f32 v2, v3, v33 :: v_dual_add_f32 v1, v1, v6
	v_dual_add_f32 v2, v2, v44 :: v_dual_add_f32 v3, v1, v7
	s_delay_alu instid0(VALU_DEP_1) | instskip(NEXT) | instid1(VALU_DEP_2)
	v_add_f32_e32 v1, v2, v32
	v_add_f32_e32 v0, v3, v0
	ds_store_2addr_b64 v4, v[24:25], v[26:27] offset0:208 offset1:224
	ds_store_2addr_b64 v4, v[0:1], v[34:35] offset0:176 offset1:192
	ds_store_b64 v121, v[117:118] offset:10112
.LBB0_5:
	s_or_b32 exec_lo, exec_lo, s0
	v_mad_u64_u32 v[32:33], null, 0x78, v120, s[10:11]
	s_waitcnt lgkmcnt(0)
	s_barrier
	buffer_gl0_inv
	s_add_u32 s8, s8, 0x2800
	s_addc_u32 s9, s9, 0
	s_clause 0x7
	global_load_b128 v[28:31], v[32:33], off offset:512
	global_load_b128 v[16:19], v[32:33], off offset:528
	global_load_b128 v[8:11], v[32:33], off offset:544
	global_load_b128 v[0:3], v[32:33], off offset:560
	global_load_b128 v[20:23], v[32:33], off offset:576
	global_load_b128 v[12:15], v[32:33], off offset:592
	global_load_b128 v[4:7], v[32:33], off offset:608
	global_load_b64 v[115:116], v[32:33], off offset:624
	ds_load_2addr_b64 v[44:47], v121 offset0:160 offset1:240
	v_add_nc_u32_e32 v32, 0x800, v121
	v_add_nc_u32_e32 v33, 0x1800, v121
	ds_load_2addr_b64 v[38:41], v121 offset1:80
	s_waitcnt vmcnt(7) lgkmcnt(0)
	v_dual_mul_f32 v66, v41, v29 :: v_dual_lshlrev_b32 v137, 3, v120
	v_mul_f32_e32 v135, v45, v31
	ds_load_2addr_b64 v[50:53], v32 offset0:64 offset1:144
	v_add_nc_u32_e32 v36, 0xc00, v121
	v_dual_mul_f32 v136, v44, v31 :: v_dual_add_nc_u32 v37, 0x1c00, v121
	s_delay_alu instid0(VALU_DEP_1)
	v_fmac_f32_e32 v136, v45, v30
	s_waitcnt vmcnt(6) lgkmcnt(0)
	v_mul_f32_e32 v140, v51, v19
	v_mul_f32_e32 v141, v50, v19
	ds_load_2addr_b64 v[54:57], v36 offset0:96 offset1:176
	v_add_nc_u32_e32 v48, 0x1000, v121
	v_add_nc_u32_e32 v49, 0x2000, v121
	v_fma_f32 v45, v50, v18, -v140
	s_waitcnt vmcnt(5) lgkmcnt(0)
	v_mul_f32_e32 v144, v55, v11
	v_mul_f32_e32 v145, v54, v11
	ds_load_2addr_b64 v[58:61], v48 offset0:128 offset1:208
	ds_load_2addr_b64 v[62:65], v33 offset0:32 offset1:112
	;; [unrolled: 1-line block ×4, first 2 shown]
	v_mul_f32_e32 v67, v40, v29
	v_mul_f32_e32 v138, v47, v17
	;; [unrolled: 1-line block ×3, first 2 shown]
	s_waitcnt vmcnt(4)
	v_mul_f32_e32 v146, v57, v1
	v_mul_f32_e32 v139, v46, v17
	;; [unrolled: 1-line block ×4, first 2 shown]
	v_fma_f32 v40, v40, v28, -v66
	s_waitcnt vmcnt(3) lgkmcnt(2)
	v_mul_f32_e32 v153, v62, v23
	s_waitcnt vmcnt(0) lgkmcnt(0)
	v_dual_mul_f32 v158, v130, v5 :: v_dual_mul_f32 v163, v133, v116
	v_mul_f32_e32 v148, v59, v3
	v_dual_mul_f32 v149, v58, v3 :: v_dual_mul_f32 v150, v61, v21
	v_mul_f32_e32 v161, v131, v7
	v_mul_f32_e32 v157, v127, v15
	v_dual_mul_f32 v160, v132, v7 :: v_dual_fmac_f32 v67, v41, v28
	v_mul_f32_e32 v162, v134, v116
	v_fma_f32 v41, v44, v30, -v135
	v_fma_f32 v44, v46, v16, -v138
	;; [unrolled: 1-line block ×5, first 2 shown]
	v_mul_f32_e32 v151, v60, v21
	v_fmac_f32_e32 v157, v128, v14
	v_fmac_f32_e32 v145, v55, v10
	v_mul_f32_e32 v152, v63, v23
	v_dual_sub_f32 v56, v46, v56 :: v_dual_fmac_f32 v161, v132, v6
	v_fmac_f32_e32 v141, v51, v18
	v_fma_f32 v51, v58, v2, -v148
	v_fma_f32 v58, v133, v115, -v162
	v_dual_mul_f32 v154, v65, v13 :: v_dual_fmac_f32 v139, v47, v16
	v_fmac_f32_e32 v147, v57, v0
	v_fma_f32 v47, v54, v10, -v144
	s_delay_alu instid0(VALU_DEP_4)
	v_sub_f32_e32 v58, v50, v58
	v_fmac_f32_e32 v163, v134, v115
	v_fmac_f32_e32 v151, v61, v20
	v_fma_f32 v54, v64, v12, -v154
	v_fmac_f32_e32 v143, v53, v8
	v_fma_f32 v53, v62, v22, -v152
	v_sub_f32_e32 v66, v147, v163
	v_dual_mul_f32 v156, v128, v15 :: v_dual_mul_f32 v159, v129, v5
	v_sub_f32_e32 v62, v145, v161
	v_fma_f32 v52, v60, v20, -v150
	s_delay_alu instid0(VALU_DEP_4) | instskip(SKIP_4) | instid1(VALU_DEP_4)
	v_fma_f32 v132, v147, 2.0, -v66
	v_sub_f32_e32 v53, v41, v53
	v_dual_fmac_f32 v159, v130, v4 :: v_dual_sub_f32 v60, v141, v157
	v_sub_f32_e32 v54, v44, v54
	v_fma_f32 v129, v145, 2.0, -v62
	v_dual_sub_f32 v62, v53, v62 :: v_dual_mul_f32 v155, v64, v13
	s_delay_alu instid0(VALU_DEP_4) | instskip(SKIP_2) | instid1(VALU_DEP_4)
	v_sub_f32_e32 v64, v143, v159
	v_dual_fmac_f32 v149, v59, v2 :: v_dual_sub_f32 v52, v40, v52
	v_fmac_f32_e32 v153, v63, v22
	v_dual_fmac_f32 v155, v65, v12 :: v_dual_sub_f32 v66, v54, v66
	v_fma_f32 v55, v127, v14, -v156
	v_sub_f32_e32 v63, v67, v151
	v_fma_f32 v57, v131, v6, -v160
	s_delay_alu instid0(VALU_DEP_4)
	v_sub_f32_e32 v65, v139, v155
	v_fma_f32 v130, v143, 2.0, -v64
	v_fma_f32 v44, v44, 2.0, -v54
	;; [unrolled: 1-line block ×3, first 2 shown]
	v_sub_f32_e32 v55, v45, v55
	v_fma_f32 v50, v50, 2.0, -v58
	v_dual_sub_f32 v59, v39, v149 :: v_dual_sub_f32 v64, v52, v64
	v_fma_f32 v40, v40, 2.0, -v52
	v_fma_f32 v46, v46, 2.0, -v56
	s_delay_alu instid0(VALU_DEP_4)
	v_sub_f32_e32 v50, v44, v50
	v_add_f32_e32 v56, v63, v56
	v_dual_add_f32 v58, v65, v58 :: v_dual_sub_f32 v57, v47, v57
	v_sub_f32_e32 v130, v67, v130
	v_fma_f32 v45, v45, 2.0, -v55
	v_fma_f32 v52, v52, 2.0, -v64
	;; [unrolled: 1-line block ×3, first 2 shown]
	v_add_f32_e32 v55, v59, v55
	v_sub_f32_e32 v61, v136, v153
	v_fma_f32 v47, v47, 2.0, -v57
	v_dual_sub_f32 v51, v38, v51 :: v_dual_sub_f32 v46, v40, v46
	v_fma_f32 v127, v141, 2.0, -v60
	s_delay_alu instid0(VALU_DEP_4) | instskip(SKIP_1) | instid1(VALU_DEP_4)
	v_add_f32_e32 v57, v61, v57
	v_fma_f32 v39, v39, 2.0, -v59
	v_sub_f32_e32 v60, v51, v60
	v_fma_f32 v38, v38, 2.0, -v51
	v_fma_f32 v67, v67, 2.0, -v130
	v_fmamk_f32 v134, v57, 0x3f3504f3, v55
	v_fma_f32 v128, v136, 2.0, -v61
	v_fma_f32 v61, v61, 2.0, -v57
	v_fmamk_f32 v133, v62, 0x3f3504f3, v60
	v_fmamk_f32 v136, v58, 0x3f3504f3, v56
	v_fmac_f32_e32 v134, 0x3f3504f3, v62
	v_fma_f32 v131, v139, 2.0, -v65
	v_sub_f32_e32 v127, v39, v127
	v_fma_f32 v65, v65, 2.0, -v58
	v_fmac_f32_e32 v136, 0x3f3504f3, v66
	v_fma_f32 v51, v51, 2.0, -v60
	v_sub_f32_e32 v132, v131, v132
	v_fma_f32 v41, v41, 2.0, -v53
	v_fma_f32 v53, v53, 2.0, -v62
	v_fmamk_f32 v62, v54, 0xbf3504f3, v52
	v_fma_f32 v59, v59, 2.0, -v55
	v_fma_f32 v139, v39, 2.0, -v127
	v_sub_f32_e32 v129, v128, v129
	v_fmac_f32_e32 v133, 0xbf3504f3, v57
	s_delay_alu instid0(VALU_DEP_4)
	v_dual_sub_f32 v57, v46, v132 :: v_dual_fmamk_f32 v140, v61, 0xbf3504f3, v59
	v_fma_f32 v63, v63, 2.0, -v56
	v_sub_f32_e32 v45, v38, v45
	v_fmamk_f32 v135, v66, 0x3f3504f3, v64
	v_fma_f32 v39, v128, 2.0, -v129
	v_fma_f32 v128, v40, 2.0, -v46
	v_fmamk_f32 v142, v65, 0xbf3504f3, v63
	v_fma_f32 v138, v38, 2.0, -v45
	v_sub_f32_e32 v47, v41, v47
	v_fma_f32 v40, v44, 2.0, -v50
	v_fmac_f32_e32 v140, 0x3f3504f3, v53
	v_fmac_f32_e32 v62, 0xbf3504f3, v65
	v_sub_f32_e32 v66, v139, v39
	v_fma_f32 v38, v41, 2.0, -v47
	v_fma_f32 v41, v131, 2.0, -v132
	v_dual_fmamk_f32 v131, v53, 0xbf3504f3, v51 :: v_dual_add_f32 v132, v130, v50
	v_fmac_f32_e32 v135, 0xbf3504f3, v58
	s_delay_alu instid0(VALU_DEP_4) | instskip(SKIP_4) | instid1(VALU_DEP_4)
	v_dual_sub_f32 v58, v138, v38 :: v_dual_add_f32 v141, v127, v47
	v_sub_f32_e32 v53, v128, v40
	v_dual_sub_f32 v129, v45, v129 :: v_dual_fmac_f32 v142, 0x3f3504f3, v54
	v_sub_f32_e32 v50, v67, v41
	v_fma_f32 v145, v55, 2.0, -v134
	v_fma_f32 v54, v128, 2.0, -v53
	v_fmac_f32_e32 v131, 0xbf3504f3, v61
	v_fma_f32 v61, v130, 2.0, -v132
	v_fma_f32 v130, v138, 2.0, -v58
	;; [unrolled: 1-line block ×3, first 2 shown]
	v_sub_f32_e32 v50, v58, v50
	v_fmamk_f32 v40, v135, 0x3f6c835e, v133
	v_fmamk_f32 v38, v57, 0x3f3504f3, v129
	v_dual_sub_f32 v54, v130, v54 :: v_dual_fmamk_f32 v39, v132, 0x3f3504f3, v141
	v_fma_f32 v138, v139, 2.0, -v66
	v_fma_f32 v139, v51, 2.0, -v131
	;; [unrolled: 1-line block ×10, first 2 shown]
	v_fmac_f32_e32 v38, 0xbf3504f3, v132
	v_fma_f32 v64, v64, 2.0, -v135
	v_fmac_f32_e32 v39, 0x3f3504f3, v57
	v_fmamk_f32 v56, v67, 0xbf6c835e, v139
	v_fmamk_f32 v57, v63, 0xbf6c835e, v146
	s_delay_alu instid0(VALU_DEP_4)
	v_dual_fmamk_f32 v47, v65, 0xbec3ef15, v145 :: v_dual_fmamk_f32 v46, v64, 0xbec3ef15, v144
	v_fmamk_f32 v52, v62, 0x3ec3ef15, v131
	v_dual_fmamk_f32 v44, v60, 0xbf3504f3, v143 :: v_dual_add_f32 v51, v66, v53
	v_fmamk_f32 v45, v61, 0xbf3504f3, v127
	v_fmamk_f32 v53, v142, 0x3ec3ef15, v140
	;; [unrolled: 1-line block ×3, first 2 shown]
	v_dual_fmac_f32 v40, 0xbec3ef15, v136 :: v_dual_sub_f32 v55, v138, v55
	v_fmac_f32_e32 v56, 0xbec3ef15, v63
	v_fmac_f32_e32 v57, 0x3ec3ef15, v67
	;; [unrolled: 1-line block ×9, first 2 shown]
	v_fma_f32 v60, v129, 2.0, -v38
	v_fma_f32 v64, v130, 2.0, -v54
	;; [unrolled: 1-line block ×16, first 2 shown]
	ds_store_2addr_b64 v121, v[64:65], v[129:130] offset1:80
	ds_store_2addr_b64 v121, v[66:67], v[127:128] offset0:160 offset1:240
	ds_store_2addr_b64 v32, v[58:59], v[131:132] offset0:64 offset1:144
	;; [unrolled: 1-line block ×7, first 2 shown]
	s_waitcnt lgkmcnt(0)
	s_barrier
	buffer_gl0_inv
	s_clause 0x1
	global_load_b64 v[44:45], v137, s[8:9]
	global_load_b64 v[46:47], v137, s[8:9] offset:640
	v_add_co_u32 v40, s0, s8, v137
	s_delay_alu instid0(VALU_DEP_1)
	v_add_co_ci_u32_e64 v41, null, s9, 0, s0
	s_clause 0x2
	global_load_b64 v[66:67], v137, s[8:9] offset:1280
	global_load_b64 v[131:132], v137, s[8:9] offset:1920
	;; [unrolled: 1-line block ×3, first 2 shown]
	v_add_co_u32 v38, s0, 0x1000, v40
	s_delay_alu instid0(VALU_DEP_1) | instskip(SKIP_1) | instid1(VALU_DEP_1)
	v_add_co_ci_u32_e64 v39, s0, 0, v41, s0
	v_add_co_u32 v40, s0, 0x2000, v40
	v_add_co_ci_u32_e64 v41, s0, 0, v41, s0
	s_clause 0xa
	global_load_b64 v[135:136], v137, s[8:9] offset:3200
	global_load_b64 v[137:138], v137, s[8:9] offset:3840
	global_load_b64 v[139:140], v[38:39], off offset:384
	global_load_b64 v[141:142], v43, s[8:9]
	global_load_b64 v[143:144], v[38:39], off offset:1664
	global_load_b64 v[145:146], v[38:39], off offset:2304
	;; [unrolled: 1-line block ×7, first 2 shown]
	ds_load_2addr_b64 v[38:41], v121 offset1:80
	s_waitcnt vmcnt(15) lgkmcnt(0)
	v_mul_f32_e32 v43, v39, v45
	s_waitcnt vmcnt(14)
	v_dual_mul_f32 v51, v38, v45 :: v_dual_mul_f32 v52, v41, v47
	v_mul_f32_e32 v45, v40, v47
	s_delay_alu instid0(VALU_DEP_3) | instskip(NEXT) | instid1(VALU_DEP_3)
	v_fma_f32 v50, v38, v44, -v43
	v_fmac_f32_e32 v51, v39, v44
	s_delay_alu instid0(VALU_DEP_4) | instskip(NEXT) | instid1(VALU_DEP_4)
	v_fma_f32 v44, v40, v46, -v52
	v_fmac_f32_e32 v45, v41, v46
	ds_store_2addr_b64 v121, v[50:51], v[44:45] offset1:80
	ds_load_2addr_b64 v[38:41], v121 offset0:160 offset1:240
	ds_load_2addr_b64 v[43:46], v32 offset0:64 offset1:144
	;; [unrolled: 1-line block ×7, first 2 shown]
	s_waitcnt vmcnt(13) lgkmcnt(6)
	v_mul_f32_e32 v158, v39, v67
	v_mul_f32_e32 v157, v38, v67
	s_waitcnt vmcnt(12)
	v_mul_f32_e32 v159, v41, v132
	v_mul_f32_e32 v67, v40, v132
	s_waitcnt vmcnt(11) lgkmcnt(5)
	v_mul_f32_e32 v160, v44, v134
	s_waitcnt vmcnt(3) lgkmcnt(1)
	v_mul_f32_e32 v168, v63, v150
	v_dual_mul_f32 v132, v43, v134 :: v_dual_mul_f32 v161, v46, v136
	s_waitcnt vmcnt(1) lgkmcnt(0)
	v_mul_f32_e32 v170, v128, v154
	v_mul_f32_e32 v134, v45, v136
	;; [unrolled: 1-line block ×7, first 2 shown]
	v_dual_mul_f32 v138, v54, v142 :: v_dual_mul_f32 v165, v57, v144
	v_mul_f32_e32 v140, v56, v144
	v_mul_f32_e32 v166, v59, v146
	v_dual_mul_f32 v142, v58, v146 :: v_dual_mul_f32 v167, v61, v148
	v_fmac_f32_e32 v132, v44, v133
	v_mul_f32_e32 v144, v60, v148
	v_dual_mul_f32 v146, v62, v150 :: v_dual_mul_f32 v169, v65, v152
	v_fmac_f32_e32 v134, v46, v135
	v_mul_f32_e32 v148, v64, v152
	v_mul_f32_e32 v150, v127, v154
	s_waitcnt vmcnt(0)
	v_dual_mul_f32 v154, v130, v156 :: v_dual_fmac_f32 v157, v39, v66
	v_dual_mul_f32 v152, v129, v156 :: v_dual_fmac_f32 v47, v51, v137
	v_fma_f32 v156, v38, v66, -v158
	v_fma_f32 v66, v40, v131, -v159
	v_dual_fmac_f32 v67, v41, v131 :: v_dual_fmac_f32 v138, v55, v141
	v_fma_f32 v131, v43, v133, -v160
	v_fma_f32 v133, v45, v135, -v161
	;; [unrolled: 1-line block ×4, first 2 shown]
	v_fmac_f32_e32 v136, v53, v139
	v_fma_f32 v137, v54, v141, -v164
	v_fma_f32 v139, v56, v143, -v165
	v_fmac_f32_e32 v140, v57, v143
	v_fma_f32 v141, v58, v145, -v166
	v_fmac_f32_e32 v142, v59, v145
	;; [unrolled: 2-line block ×7, first 2 shown]
	ds_store_2addr_b64 v121, v[156:157], v[66:67] offset0:160 offset1:240
	ds_store_2addr_b64 v32, v[131:132], v[133:134] offset0:64 offset1:144
	;; [unrolled: 1-line block ×7, first 2 shown]
	s_waitcnt lgkmcnt(0)
	s_barrier
	buffer_gl0_inv
	ds_load_2addr_b64 v[38:41], v121 offset1:80
	ds_load_2addr_b64 v[43:46], v48 offset0:128 offset1:208
	ds_load_2addr_b64 v[50:53], v32 offset0:64 offset1:144
	;; [unrolled: 1-line block ×7, first 2 shown]
	v_add_nc_u32_e32 v66, 0x400, v121
	v_add_nc_u32_e32 v135, 0x1400, v121
	s_waitcnt lgkmcnt(0)
	s_barrier
	buffer_gl0_inv
	v_sub_f32_e32 v37, v39, v44
	v_sub_f32_e32 v45, v40, v45
	v_dual_sub_f32 v57, v53, v57 :: v_dual_sub_f32 v44, v51, v55
	v_sub_f32_e32 v36, v38, v43
	v_sub_f32_e32 v43, v50, v54
	v_dual_sub_f32 v47, v58, v62 :: v_dual_sub_f32 v54, v59, v63
	v_dual_sub_f32 v55, v127, v131 :: v_dual_sub_f32 v62, v128, v132
	v_sub_f32_e32 v63, v60, v64
	v_sub_f32_e32 v67, v130, v134
	v_fma_f32 v39, v39, 2.0, -v37
	v_fma_f32 v53, v53, 2.0, -v57
	v_add_f32_e32 v57, v45, v57
	v_fma_f32 v51, v51, 2.0, -v44
	v_sub_f32_e32 v64, v61, v65
	v_dual_sub_f32 v65, v129, v133 :: v_dual_sub_f32 v56, v52, v56
	v_fma_f32 v38, v38, 2.0, -v36
	v_fma_f32 v50, v50, 2.0, -v43
	;; [unrolled: 1-line block ×3, first 2 shown]
	s_delay_alu instid0(VALU_DEP_4)
	v_fma_f32 v129, v129, 2.0, -v65
	v_fma_f32 v130, v130, 2.0, -v67
	v_add_f32_e32 v67, v63, v67
	v_sub_f32_e32 v43, v37, v43
	v_fma_f32 v128, v128, 2.0, -v62
	v_sub_f32_e32 v51, v39, v51
	v_fma_f32 v61, v61, 2.0, -v64
	v_dual_sub_f32 v65, v64, v65 :: v_dual_sub_f32 v46, v41, v46
	v_sub_f32_e32 v55, v54, v55
	v_fma_f32 v59, v59, 2.0, -v54
	v_fma_f32 v58, v58, 2.0, -v47
	;; [unrolled: 1-line block ×6, first 2 shown]
	v_add_f32_e32 v44, v36, v44
	v_add_f32_e32 v62, v47, v62
	v_sub_f32_e32 v50, v38, v50
	v_fma_f32 v132, v37, 2.0, -v43
	v_sub_f32_e32 v37, v59, v128
	v_fma_f32 v54, v54, 2.0, -v55
	v_sub_f32_e32 v128, v61, v130
	v_dual_sub_f32 v56, v46, v56 :: v_dual_fmamk_f32 v133, v67, 0x3f3504f3, v57
	v_sub_f32_e32 v53, v41, v53
	v_fma_f32 v131, v36, 2.0, -v44
	v_sub_f32_e32 v52, v40, v52
	v_fma_f32 v137, v39, 2.0, -v51
	v_fma_f32 v39, v59, 2.0, -v37
	v_fma_f32 v59, v61, 2.0, -v128
	v_fmamk_f32 v61, v54, 0xbf3504f3, v132
	v_dual_sub_f32 v36, v58, v127 :: v_dual_sub_f32 v127, v60, v129
	v_fmamk_f32 v129, v62, 0x3f3504f3, v44
	v_fma_f32 v47, v47, 2.0, -v62
	v_fma_f32 v45, v45, 2.0, -v57
	;; [unrolled: 1-line block ×5, first 2 shown]
	v_fmamk_f32 v130, v55, 0x3f3504f3, v43
	v_fma_f32 v136, v38, 2.0, -v50
	v_fma_f32 v40, v40, 2.0, -v52
	v_fma_f32 v41, v41, 2.0, -v53
	v_dual_add_f32 v138, v50, v37 :: v_dual_fmac_f32 v129, 0x3f3504f3, v55
	v_dual_add_f32 v55, v52, v128 :: v_dual_fmamk_f32 v134, v65, 0x3f3504f3, v56
	v_sub_f32_e32 v139, v51, v36
	v_fma_f32 v38, v58, 2.0, -v36
	v_fma_f32 v58, v60, 2.0, -v127
	v_fmamk_f32 v60, v47, 0xbf3504f3, v131
	v_dual_fmamk_f32 v140, v64, 0xbf3504f3, v46 :: v_dual_fmac_f32 v61, 0xbf3504f3, v47
	v_dual_sub_f32 v127, v53, v127 :: v_dual_fmac_f32 v130, 0xbf3504f3, v62
	v_fmamk_f32 v62, v63, 0xbf3504f3, v45
	v_fmac_f32_e32 v133, 0x3f3504f3, v65
	v_sub_f32_e32 v65, v136, v38
	v_fmac_f32_e32 v60, 0x3f3504f3, v54
	v_fma_f32 v47, v50, 2.0, -v138
	v_fma_f32 v141, v51, 2.0, -v139
	v_dual_sub_f32 v51, v40, v58 :: v_dual_sub_f32 v50, v41, v59
	v_fmamk_f32 v37, v127, 0x3f3504f3, v139
	v_fma_f32 v58, v52, 2.0, -v55
	v_fmac_f32_e32 v134, 0xbf3504f3, v67
	v_dual_sub_f32 v67, v137, v39 :: v_dual_fmac_f32 v62, 0x3f3504f3, v64
	v_fma_f32 v128, v136, 2.0, -v65
	v_fma_f32 v41, v41, 2.0, -v50
	;; [unrolled: 1-line block ×3, first 2 shown]
	s_delay_alu instid0(VALU_DEP_4)
	v_fma_f32 v136, v137, 2.0, -v67
	v_fmac_f32_e32 v140, 0xbf3504f3, v63
	v_fma_f32 v143, v43, 2.0, -v130
	v_fma_f32 v63, v57, 2.0, -v133
	v_fmamk_f32 v43, v58, 0xbf3504f3, v47
	v_fma_f32 v64, v56, 2.0, -v134
	v_fma_f32 v59, v53, 2.0, -v127
	v_fmamk_f32 v36, v55, 0x3f3504f3, v138
	v_fma_f32 v137, v131, 2.0, -v60
	v_fma_f32 v144, v132, 2.0, -v61
	;; [unrolled: 1-line block ×3, first 2 shown]
	v_fmac_f32_e32 v43, 0x3f3504f3, v59
	v_sub_f32_e32 v51, v67, v51
	v_fma_f32 v131, v45, 2.0, -v62
	s_delay_alu instid0(VALU_DEP_4)
	v_dual_fmac_f32 v37, 0xbf3504f3, v55 :: v_dual_sub_f32 v54, v128, v40
	v_sub_f32_e32 v55, v136, v41
	v_fma_f32 v132, v46, 2.0, -v140
	v_dual_fmamk_f32 v45, v63, 0xbec3ef15, v142 :: v_dual_fmamk_f32 v46, v64, 0xbec3ef15, v143
	v_dual_add_f32 v50, v65, v50 :: v_dual_fmamk_f32 v53, v140, 0x3ec3ef15, v61
	v_fmamk_f32 v52, v62, 0x3ec3ef15, v60
	v_dual_fmamk_f32 v38, v133, 0x3f6c835e, v129 :: v_dual_fmamk_f32 v39, v134, 0x3f6c835e, v130
	v_dual_fmamk_f32 v56, v131, 0xbf6c835e, v137 :: v_dual_fmamk_f32 v57, v132, 0xbf6c835e, v144
	v_fmamk_f32 v44, v59, 0xbf3504f3, v141
	v_dual_fmac_f32 v46, 0xbf6c835e, v63 :: v_dual_fmac_f32 v53, 0xbf6c835e, v62
	v_fmac_f32_e32 v52, 0x3f6c835e, v140
	v_fmac_f32_e32 v36, 0x3f3504f3, v127
	;; [unrolled: 1-line block ×8, first 2 shown]
	v_fma_f32 v58, v65, 2.0, -v50
	v_fma_f32 v59, v67, 2.0, -v51
	v_fma_f32 v60, v60, 2.0, -v52
	v_fma_f32 v61, v61, 2.0, -v53
	v_fma_f32 v62, v138, 2.0, -v36
	v_fma_f32 v63, v139, 2.0, -v37
	v_fma_f32 v64, v129, 2.0, -v38
	v_fma_f32 v65, v130, 2.0, -v39
	v_fma_f32 v127, v128, 2.0, -v54
	v_fma_f32 v128, v136, 2.0, -v55
	v_fma_f32 v129, v137, 2.0, -v56
	v_fma_f32 v130, v144, 2.0, -v57
	v_fma_f32 v131, v47, 2.0, -v43
	v_fma_f32 v132, v141, 2.0, -v44
	v_fma_f32 v133, v142, 2.0, -v45
	v_fma_f32 v134, v143, 2.0, -v46
	ds_store_b128 v42, v[50:53] offset:96
	ds_store_b128 v42, v[36:39] offset:112
	;; [unrolled: 1-line block ×6, first 2 shown]
	ds_store_b128 v42, v[127:130]
	ds_store_b128 v42, v[131:134] offset:16
	s_waitcnt lgkmcnt(0)
	s_barrier
	buffer_gl0_inv
	ds_load_2addr_b64 v[44:47], v121 offset1:80
	ds_load_2addr_b64 v[40:43], v66 offset0:32 offset1:128
	ds_load_2addr_b64 v[64:67], v48 offset1:80
	ds_load_2addr_b64 v[52:55], v135 offset0:32 offset1:128
	;; [unrolled: 2-line block ×3, first 2 shown]
	ds_load_2addr_b64 v[48:51], v33 offset0:80 offset1:160
	ds_load_b64 v[36:37], v121 offset:9472
	s_and_saveexec_b32 s0, vcc_lo
	s_cbranch_execz .LBB0_7
; %bb.6:
	v_add_nc_u32_e32 v24, 0x180, v121
	ds_load_2addr_stride64_b64 v[32:35], v24 offset0:3 offset1:7
	ds_load_b64 v[117:118], v121 offset:10112
	ds_load_2addr_stride64_b64 v[24:27], v24 offset0:11 offset1:15
	s_waitcnt lgkmcnt(2)
	v_dual_mov_b32 v39, v33 :: v_dual_mov_b32 v38, v32
.LBB0_7:
	s_or_b32 exec_lo, exec_lo, s0
	s_waitcnt lgkmcnt(5)
	v_dual_mul_f32 v127, v102, v43 :: v_dual_mul_f32 v128, v108, v65
	v_dual_mul_f32 v32, v102, v42 :: v_dual_mul_f32 v33, v108, v64
	s_waitcnt lgkmcnt(4)
	v_mul_f32_e32 v129, v104, v55
	s_delay_alu instid0(VALU_DEP_3)
	v_fmac_f32_e32 v127, v126, v42
	v_fmac_f32_e32 v128, v110, v64
	v_fma_f32 v130, v126, v43, -v32
	v_fma_f32 v64, v110, v65, -v33
	s_waitcnt lgkmcnt(3)
	v_dual_mul_f32 v32, v104, v54 :: v_dual_mul_f32 v43, v106, v57
	v_mul_f32_e32 v33, v106, v56
	s_waitcnt lgkmcnt(2)
	v_mul_f32_e32 v65, v102, v61
	v_mul_f32_e32 v42, v102, v60
	v_fmac_f32_e32 v129, v114, v54
	v_fma_f32 v54, v114, v55, -v32
	v_mul_f32_e32 v32, v108, v66
	v_fma_f32 v55, v112, v57, -v33
	v_fmac_f32_e32 v65, v126, v60
	v_mul_f32_e32 v57, v108, v67
	v_fma_f32 v60, v126, v61, -v42
	s_waitcnt lgkmcnt(1)
	v_dual_mul_f32 v61, v104, v49 :: v_dual_mul_f32 v132, v102, v63
	v_mul_f32_e32 v33, v104, v48
	v_fmac_f32_e32 v43, v112, v56
	v_fmac_f32_e32 v57, v110, v66
	v_fma_f32 v66, v110, v67, -v32
	v_mul_f32_e32 v32, v106, v58
	v_mul_f32_e32 v42, v108, v52
	v_fmac_f32_e32 v132, v126, v62
	v_fma_f32 v67, v114, v49, -v33
	v_dual_mul_f32 v33, v102, v62 :: v_dual_mul_f32 v102, v108, v53
	s_delay_alu instid0(VALU_DEP_4)
	v_fma_f32 v108, v110, v53, -v42
	v_add_f32_e32 v42, v44, v127
	v_sub_f32_e32 v49, v130, v55
	s_waitcnt lgkmcnt(0)
	v_fmac_f32_e32 v102, v110, v52
	v_mul_f32_e32 v110, v104, v51
	v_add_f32_e32 v52, v127, v43
	v_fma_f32 v63, v126, v63, -v33
	v_dual_mul_f32 v33, v104, v50 :: v_dual_mul_f32 v104, v106, v37
	v_mul_f32_e32 v131, v106, v59
	v_fmac_f32_e32 v110, v114, v50
	v_sub_f32_e32 v50, v64, v54
	s_barrier
	v_fmac_f32_e32 v104, v112, v36
	v_fmac_f32_e32 v131, v112, v58
	v_fma_f32 v58, v112, v59, -v32
	v_add_f32_e32 v32, v128, v129
	buffer_gl0_inv
	v_fma_f32 v32, -0.5, v32, v44
	v_fmac_f32_e32 v61, v114, v48
	v_fma_f32 v114, v114, v51, -v33
	v_add_f32_e32 v33, v42, v128
	v_sub_f32_e32 v48, v127, v128
	v_dual_fmamk_f32 v42, v49, 0xbf737871, v32 :: v_dual_sub_f32 v51, v43, v129
	v_dual_fmac_f32 v32, 0x3f737871, v49 :: v_dual_sub_f32 v59, v66, v67
	v_sub_f32_e32 v62, v131, v61
	s_delay_alu instid0(VALU_DEP_3) | instskip(NEXT) | instid1(VALU_DEP_1)
	v_dual_fmac_f32 v42, 0xbf167918, v50 :: v_dual_add_f32 v51, v48, v51
	v_dual_add_f32 v33, v33, v129 :: v_dual_fmac_f32 v42, 0x3e9e377a, v51
	v_mul_f32_e32 v53, v106, v36
	v_fma_f32 v36, -0.5, v52, v44
	s_delay_alu instid0(VALU_DEP_3) | instskip(SKIP_1) | instid1(VALU_DEP_4)
	v_add_f32_e32 v44, v33, v43
	v_dual_sub_f32 v33, v128, v127 :: v_dual_add_f32 v52, v45, v130
	v_fma_f32 v106, v112, v37, -v53
	s_delay_alu instid0(VALU_DEP_4) | instskip(SKIP_3) | instid1(VALU_DEP_4)
	v_dual_fmamk_f32 v48, v50, 0x3f737871, v36 :: v_dual_sub_f32 v37, v129, v43
	v_add_f32_e32 v53, v64, v54
	v_fmac_f32_e32 v32, 0x3f167918, v50
	v_fmac_f32_e32 v36, 0xbf737871, v50
	;; [unrolled: 1-line block ×3, first 2 shown]
	v_add_f32_e32 v37, v33, v37
	v_fma_f32 v33, -0.5, v53, v45
	v_dual_sub_f32 v53, v127, v43 :: v_dual_add_f32 v50, v52, v64
	s_delay_alu instid0(VALU_DEP_1) | instskip(SKIP_1) | instid1(VALU_DEP_3)
	v_dual_add_f32 v112, v66, v67 :: v_dual_fmamk_f32 v43, v53, 0x3f737871, v33
	v_dual_fmac_f32 v32, 0x3e9e377a, v51 :: v_dual_sub_f32 v51, v128, v129
	v_dual_fmac_f32 v36, 0x3f167918, v49 :: v_dual_add_f32 v49, v50, v54
	v_dual_add_f32 v50, v130, v55 :: v_dual_fmac_f32 v33, 0xbf737871, v53
	v_fmac_f32_e32 v48, 0x3e9e377a, v37
	s_delay_alu instid0(VALU_DEP_4) | instskip(NEXT) | instid1(VALU_DEP_4)
	v_dual_fmac_f32 v43, 0x3f167918, v51 :: v_dual_sub_f32 v56, v55, v54
	v_fmac_f32_e32 v36, 0x3e9e377a, v37
	s_delay_alu instid0(VALU_DEP_4) | instskip(SKIP_2) | instid1(VALU_DEP_2)
	v_fma_f32 v37, -0.5, v50, v45
	v_dual_sub_f32 v52, v130, v64 :: v_dual_add_f32 v45, v49, v55
	v_dual_sub_f32 v50, v64, v130 :: v_dual_fmac_f32 v33, 0xbf167918, v51
	v_dual_fmamk_f32 v49, v51, 0xbf737871, v37 :: v_dual_add_f32 v52, v52, v56
	v_dual_sub_f32 v54, v54, v55 :: v_dual_add_f32 v55, v57, v61
	v_fmac_f32_e32 v37, 0x3f737871, v51
	s_delay_alu instid0(VALU_DEP_3) | instskip(NEXT) | instid1(VALU_DEP_3)
	v_fmac_f32_e32 v49, 0x3f167918, v53
	v_dual_fmac_f32 v33, 0x3e9e377a, v52 :: v_dual_add_f32 v54, v50, v54
	v_add_f32_e32 v56, v46, v65
	v_fma_f32 v50, -0.5, v55, v46
	v_sub_f32_e32 v55, v60, v58
	v_fmac_f32_e32 v43, 0x3e9e377a, v52
	v_fmac_f32_e32 v49, 0x3e9e377a, v54
	v_add_f32_e32 v51, v56, v57
	v_sub_f32_e32 v56, v65, v57
	v_fmamk_f32 v52, v55, 0xbf737871, v50
	v_dual_add_f32 v64, v65, v131 :: v_dual_fmac_f32 v37, 0xbf167918, v53
	s_delay_alu instid0(VALU_DEP_4) | instskip(NEXT) | instid1(VALU_DEP_3)
	v_dual_add_f32 v51, v51, v61 :: v_dual_fmac_f32 v50, 0x3f737871, v55
	v_fmac_f32_e32 v52, 0xbf167918, v59
	s_delay_alu instid0(VALU_DEP_3) | instskip(SKIP_1) | instid1(VALU_DEP_4)
	v_fma_f32 v46, -0.5, v64, v46
	v_dual_add_f32 v64, v47, v60 :: v_dual_add_f32 v53, v56, v62
	v_dual_fmac_f32 v37, 0x3e9e377a, v54 :: v_dual_add_f32 v54, v51, v131
	s_delay_alu instid0(VALU_DEP_3) | instskip(SKIP_1) | instid1(VALU_DEP_4)
	v_dual_fmamk_f32 v56, v59, 0x3f737871, v46 :: v_dual_sub_f32 v51, v57, v65
	v_fmac_f32_e32 v50, 0x3f167918, v59
	v_dual_fmac_f32 v46, 0xbf737871, v59 :: v_dual_add_f32 v59, v64, v66
	v_sub_f32_e32 v64, v65, v131
	v_sub_f32_e32 v62, v61, v131
	v_fmac_f32_e32 v56, 0xbf167918, v55
	s_delay_alu instid0(VALU_DEP_4) | instskip(SKIP_1) | instid1(VALU_DEP_4)
	v_dual_fmac_f32 v46, 0x3f167918, v55 :: v_dual_sub_f32 v61, v57, v61
	v_sub_f32_e32 v57, v60, v66
	v_dual_add_f32 v62, v51, v62 :: v_dual_sub_f32 v65, v58, v67
	v_fma_f32 v51, -0.5, v112, v47
	v_add_f32_e32 v55, v59, v67
	v_dual_add_f32 v59, v60, v58 :: v_dual_fmac_f32 v52, 0x3e9e377a, v53
	v_fmac_f32_e32 v50, 0x3e9e377a, v53
	s_delay_alu instid0(VALU_DEP_4) | instskip(NEXT) | instid1(VALU_DEP_3)
	v_dual_fmamk_f32 v53, v64, 0x3f737871, v51 :: v_dual_sub_f32 v60, v66, v60
	v_fmac_f32_e32 v47, -0.5, v59
	v_dual_add_f32 v59, v57, v65 :: v_dual_sub_f32 v66, v108, v114
	s_delay_alu instid0(VALU_DEP_3) | instskip(SKIP_1) | instid1(VALU_DEP_4)
	v_fmac_f32_e32 v53, 0x3f167918, v61
	v_fmac_f32_e32 v51, 0xbf737871, v64
	v_fmamk_f32 v57, v61, 0xbf737871, v47
	v_fmac_f32_e32 v47, 0x3f737871, v61
	s_delay_alu instid0(VALU_DEP_4) | instskip(NEXT) | instid1(VALU_DEP_3)
	v_fmac_f32_e32 v53, 0x3e9e377a, v59
	v_fmac_f32_e32 v57, 0x3f167918, v64
	;; [unrolled: 1-line block ×3, first 2 shown]
	v_add_f32_e32 v55, v55, v58
	v_fmac_f32_e32 v56, 0x3e9e377a, v62
	v_dual_sub_f32 v58, v67, v58 :: v_dual_fmac_f32 v51, 0xbf167918, v61
	v_add_f32_e32 v62, v102, v110
	v_sub_f32_e32 v61, v63, v106
	s_delay_alu instid0(VALU_DEP_3) | instskip(SKIP_1) | instid1(VALU_DEP_4)
	v_add_f32_e32 v65, v60, v58
	v_add_f32_e32 v60, v40, v132
	v_fma_f32 v58, -0.5, v62, v40
	v_dual_fmac_f32 v47, 0xbf167918, v64 :: v_dual_sub_f32 v62, v132, v102
	v_dual_sub_f32 v64, v104, v110 :: v_dual_fmac_f32 v51, 0x3e9e377a, v59
	s_delay_alu instid0(VALU_DEP_1) | instskip(NEXT) | instid1(VALU_DEP_4)
	v_dual_add_f32 v64, v62, v64 :: v_dual_add_f32 v59, v60, v102
	v_fmamk_f32 v60, v61, 0xbf737871, v58
	v_dual_fmac_f32 v58, 0x3f737871, v61 :: v_dual_add_f32 v67, v132, v104
	v_fmac_f32_e32 v47, 0x3e9e377a, v65
	s_delay_alu instid0(VALU_DEP_3) | instskip(SKIP_1) | instid1(VALU_DEP_4)
	v_fmac_f32_e32 v60, 0xbf167918, v66
	v_add_f32_e32 v59, v59, v110
	v_fmac_f32_e32 v58, 0x3f167918, v66
	v_fma_f32 v40, -0.5, v67, v40
	v_sub_f32_e32 v67, v110, v104
	v_dual_fmac_f32 v60, 0x3e9e377a, v64 :: v_dual_fmac_f32 v57, 0x3e9e377a, v65
	v_dual_add_f32 v62, v59, v104 :: v_dual_add_f32 v59, v108, v114
	v_sub_f32_e32 v65, v102, v132
	v_fmac_f32_e32 v58, 0x3e9e377a, v64
	v_fmamk_f32 v64, v66, 0x3f737871, v40
	v_fmac_f32_e32 v40, 0xbf737871, v66
	v_fma_f32 v59, -0.5, v59, v41
	v_dual_add_f32 v65, v65, v67 :: v_dual_sub_f32 v104, v132, v104
	v_dual_add_f32 v67, v63, v106 :: v_dual_add_f32 v66, v41, v63
	v_fmac_f32_e32 v64, 0xbf167918, v61
	v_sub_f32_e32 v102, v102, v110
	s_delay_alu instid0(VALU_DEP_3) | instskip(SKIP_4) | instid1(VALU_DEP_3)
	v_dual_sub_f32 v110, v106, v114 :: v_dual_fmac_f32 v41, -0.5, v67
	v_dual_sub_f32 v67, v63, v108 :: v_dual_fmac_f32 v40, 0x3f167918, v61
	v_dual_fmamk_f32 v61, v104, 0x3f737871, v59 :: v_dual_add_f32 v66, v66, v108
	v_dual_sub_f32 v63, v108, v63 :: v_dual_fmac_f32 v64, 0x3e9e377a, v65
	v_fmac_f32_e32 v59, 0xbf737871, v104
	v_fmac_f32_e32 v61, 0x3f167918, v102
	s_delay_alu instid0(VALU_DEP_4)
	v_add_f32_e32 v66, v66, v114
	v_fmac_f32_e32 v40, 0x3e9e377a, v65
	v_sub_f32_e32 v108, v114, v106
	v_fmamk_f32 v65, v102, 0xbf737871, v41
	v_fmac_f32_e32 v41, 0x3f737871, v102
	v_fmac_f32_e32 v59, 0xbf167918, v102
	s_delay_alu instid0(VALU_DEP_2) | instskip(SKIP_4) | instid1(VALU_DEP_4)
	v_fmac_f32_e32 v41, 0xbf167918, v104
	v_add_f32_e32 v102, v63, v108
	v_fmac_f32_e32 v65, 0x3f167918, v104
	v_add_f32_e32 v67, v67, v110
	v_add_f32_e32 v63, v66, v106
	v_fmac_f32_e32 v41, 0x3e9e377a, v102
	s_delay_alu instid0(VALU_DEP_4) | instskip(NEXT) | instid1(VALU_DEP_4)
	v_fmac_f32_e32 v65, 0x3e9e377a, v102
	v_fmac_f32_e32 v61, 0x3e9e377a, v67
	;; [unrolled: 1-line block ×3, first 2 shown]
	ds_store_2addr_b64 v125, v[44:45], v[42:43] offset1:16
	ds_store_2addr_b64 v125, v[48:49], v[36:37] offset0:32 offset1:48
	ds_store_b64 v125, v[32:33] offset:512
	ds_store_2addr_b64 v124, v[54:55], v[52:53] offset1:16
	ds_store_2addr_b64 v124, v[56:57], v[46:47] offset0:32 offset1:48
	ds_store_b64 v124, v[50:51] offset:512
	;; [unrolled: 3-line block ×3, first 2 shown]
	s_and_saveexec_b32 s0, vcc_lo
	s_cbranch_execz .LBB0_9
; %bb.8:
	v_dual_mul_f32 v32, v109, v34 :: v_dual_mul_f32 v33, v122, v117
	v_dual_mul_f32 v36, v113, v24 :: v_dual_mul_f32 v41, v111, v27
	v_mul_f32_e32 v40, v113, v25
	s_delay_alu instid0(VALU_DEP_3) | instskip(NEXT) | instid1(VALU_DEP_4)
	v_fma_f32 v32, v101, v35, -v32
	v_fma_f32 v42, v105, v118, -v33
	s_delay_alu instid0(VALU_DEP_4) | instskip(SKIP_4) | instid1(VALU_DEP_4)
	v_fma_f32 v36, v107, v25, -v36
	v_mul_f32_e32 v25, v111, v26
	v_dual_fmac_f32 v40, v107, v24 :: v_dual_mul_f32 v43, v109, v35
	v_mul_f32_e32 v44, v122, v118
	v_fmac_f32_e32 v41, v103, v26
	v_fma_f32 v26, v103, v27, -v25
	s_delay_alu instid0(VALU_DEP_4) | instskip(NEXT) | instid1(VALU_DEP_4)
	v_fmac_f32_e32 v43, v101, v34
	v_fmac_f32_e32 v44, v105, v117
	s_delay_alu instid0(VALU_DEP_4) | instskip(SKIP_3) | instid1(VALU_DEP_3)
	v_sub_f32_e32 v37, v40, v41
	v_add_f32_e32 v24, v32, v42
	v_sub_f32_e32 v33, v26, v42
	v_sub_f32_e32 v46, v42, v26
	v_fma_f32 v25, -0.5, v24, v39
	v_sub_f32_e32 v24, v36, v32
	v_dual_add_f32 v34, v36, v26 :: v_dual_sub_f32 v45, v43, v44
	s_delay_alu instid0(VALU_DEP_3) | instskip(SKIP_1) | instid1(VALU_DEP_4)
	v_fmamk_f32 v27, v37, 0x3f737871, v25
	v_fmac_f32_e32 v25, 0xbf737871, v37
	v_add_f32_e32 v24, v24, v33
	s_delay_alu instid0(VALU_DEP_4) | instskip(NEXT) | instid1(VALU_DEP_4)
	v_fma_f32 v33, -0.5, v34, v39
	v_dual_sub_f32 v34, v32, v36 :: v_dual_fmac_f32 v27, 0xbf167918, v45
	s_delay_alu instid0(VALU_DEP_4) | instskip(SKIP_1) | instid1(VALU_DEP_4)
	v_fmac_f32_e32 v25, 0x3f167918, v45
	v_add_f32_e32 v39, v39, v32
	v_fmamk_f32 v35, v45, 0xbf737871, v33
	s_delay_alu instid0(VALU_DEP_4) | instskip(SKIP_2) | instid1(VALU_DEP_4)
	v_dual_fmac_f32 v33, 0x3f737871, v45 :: v_dual_add_f32 v34, v34, v46
	v_fmac_f32_e32 v27, 0x3e9e377a, v24
	v_fmac_f32_e32 v25, 0x3e9e377a, v24
	v_dual_add_f32 v24, v43, v44 :: v_dual_fmac_f32 v35, 0xbf167918, v37
	s_delay_alu instid0(VALU_DEP_4) | instskip(SKIP_1) | instid1(VALU_DEP_3)
	v_fmac_f32_e32 v33, 0x3f167918, v37
	v_add_f32_e32 v46, v40, v41
	v_fma_f32 v24, -0.5, v24, v38
	v_add_f32_e32 v37, v39, v36
	s_delay_alu instid0(VALU_DEP_4) | instskip(SKIP_2) | instid1(VALU_DEP_4)
	v_fmac_f32_e32 v33, 0x3e9e377a, v34
	v_sub_f32_e32 v36, v36, v26
	v_fmac_f32_e32 v35, 0x3e9e377a, v34
	v_add_f32_e32 v34, v37, v26
	s_delay_alu instid0(VALU_DEP_3) | instskip(NEXT) | instid1(VALU_DEP_2)
	v_fmamk_f32 v26, v36, 0xbf737871, v24
	v_dual_fmac_f32 v24, 0x3f737871, v36 :: v_dual_add_f32 v37, v34, v42
	v_sub_f32_e32 v42, v32, v42
	v_fma_f32 v32, -0.5, v46, v38
	v_sub_f32_e32 v39, v40, v43
	v_dual_sub_f32 v45, v41, v44 :: v_dual_add_f32 v38, v38, v43
	s_delay_alu instid0(VALU_DEP_4) | instskip(NEXT) | instid1(VALU_DEP_4)
	v_fmac_f32_e32 v26, 0x3f167918, v42
	v_fmamk_f32 v34, v42, 0x3f737871, v32
	s_delay_alu instid0(VALU_DEP_3) | instskip(SKIP_2) | instid1(VALU_DEP_3)
	v_dual_fmac_f32 v32, 0xbf737871, v42 :: v_dual_add_f32 v39, v39, v45
	v_sub_f32_e32 v43, v43, v40
	v_dual_sub_f32 v45, v44, v41 :: v_dual_add_f32 v38, v38, v40
	v_fmac_f32_e32 v32, 0xbf167918, v36
	s_delay_alu instid0(VALU_DEP_4) | instskip(SKIP_1) | instid1(VALU_DEP_4)
	v_fmac_f32_e32 v26, 0x3e9e377a, v39
	v_fmac_f32_e32 v24, 0xbf167918, v42
	v_add_f32_e32 v40, v43, v45
	v_add_f32_e32 v38, v38, v41
	v_fmac_f32_e32 v34, 0x3f167918, v36
	s_delay_alu instid0(VALU_DEP_4) | instskip(NEXT) | instid1(VALU_DEP_4)
	v_fmac_f32_e32 v24, 0x3e9e377a, v39
	v_fmac_f32_e32 v32, 0x3e9e377a, v40
	s_delay_alu instid0(VALU_DEP_4)
	v_add_f32_e32 v36, v38, v44
	v_add_nc_u32_e32 v38, 0x2000, v121
	v_fmac_f32_e32 v34, 0x3e9e377a, v40
	ds_store_2addr_b64 v38, v[36:37], v[32:33] offset0:176 offset1:192
	ds_store_2addr_b64 v38, v[24:25], v[26:27] offset0:208 offset1:224
	ds_store_b64 v121, v[34:35] offset:10112
.LBB0_9:
	s_or_b32 exec_lo, exec_lo, s0
	s_waitcnt lgkmcnt(0)
	s_barrier
	buffer_gl0_inv
	ds_load_2addr_b64 v[34:37], v121 offset1:80
	ds_load_2addr_b64 v[38:41], v121 offset0:160 offset1:240
	v_add_nc_u32_e32 v26, 0x1800, v121
	v_add_nc_u32_e32 v32, 0xc00, v121
	;; [unrolled: 1-line block ×3, first 2 shown]
	s_mov_b32 s0, 0x9999999a
	s_mov_b32 s1, 0x3f499999
	s_waitcnt lgkmcnt(0)
	v_mul_f32_e32 v67, v31, v39
	v_dual_mul_f32 v31, v31, v38 :: v_dual_mul_f32 v66, v29, v37
	v_mul_f32_e32 v29, v29, v36
	s_delay_alu instid0(VALU_DEP_3) | instskip(NEXT) | instid1(VALU_DEP_3)
	v_fmac_f32_e32 v67, v30, v38
	v_dual_fmac_f32 v66, v28, v36 :: v_dual_add_nc_u32 v33, 0x800, v121
	s_delay_alu instid0(VALU_DEP_3) | instskip(SKIP_4) | instid1(VALU_DEP_1)
	v_fma_f32 v28, v28, v37, -v29
	v_fma_f32 v29, v30, v39, -v31
	ds_load_2addr_b64 v[42:45], v33 offset0:64 offset1:144
	s_waitcnt lgkmcnt(0)
	v_dual_mul_f32 v30, v19, v43 :: v_dual_add_nc_u32 v27, 0x1000, v121
	v_dual_fmac_f32 v30, v18, v42 :: v_dual_add_nc_u32 v25, 0x1c00, v121
	ds_load_2addr_b64 v[46:49], v32 offset0:96 offset1:176
	ds_load_2addr_b64 v[50:53], v27 offset0:128 offset1:208
	ds_load_2addr_b64 v[54:57], v26 offset0:32 offset1:112
	ds_load_2addr_b64 v[58:61], v25 offset0:64 offset1:144
	ds_load_2addr_b64 v[62:65], v24 offset0:96 offset1:176
	v_mul_f32_e32 v101, v17, v41
	v_mul_f32_e32 v17, v17, v40
	;; [unrolled: 1-line block ×3, first 2 shown]
	s_delay_alu instid0(VALU_DEP_3) | instskip(NEXT) | instid1(VALU_DEP_3)
	v_fmac_f32_e32 v101, v16, v40
	v_fma_f32 v16, v16, v41, -v17
	v_mul_f32_e32 v17, v9, v45
	v_mul_f32_e32 v9, v9, v44
	v_fma_f32 v18, v18, v43, -v19
	s_waitcnt lgkmcnt(4)
	v_mul_f32_e32 v19, v11, v47
	s_waitcnt lgkmcnt(3)
	v_mul_f32_e32 v31, v3, v51
	v_mul_f32_e32 v3, v3, v50
	s_delay_alu instid0(VALU_DEP_3) | instskip(NEXT) | instid1(VALU_DEP_3)
	v_fmac_f32_e32 v19, v10, v46
	v_fmac_f32_e32 v31, v2, v50
	s_delay_alu instid0(VALU_DEP_3)
	v_fma_f32 v2, v2, v51, -v3
	v_fmac_f32_e32 v17, v8, v44
	v_fma_f32 v8, v8, v45, -v9
	v_mul_f32_e32 v9, v11, v46
	v_mul_f32_e32 v11, v1, v49
	v_dual_mul_f32 v1, v1, v48 :: v_dual_sub_f32 v2, v35, v2
	s_waitcnt lgkmcnt(2)
	v_mul_f32_e32 v3, v23, v55
	v_fma_f32 v9, v10, v47, -v9
	v_mul_f32_e32 v10, v21, v52
	v_fmac_f32_e32 v11, v0, v48
	v_fma_f32 v0, v0, v49, -v1
	s_delay_alu instid0(VALU_DEP_3) | instskip(NEXT) | instid1(VALU_DEP_1)
	v_fma_f32 v10, v20, v53, -v10
	v_dual_mul_f32 v1, v21, v53 :: v_dual_sub_f32 v10, v28, v10
	s_delay_alu instid0(VALU_DEP_1) | instskip(SKIP_1) | instid1(VALU_DEP_3)
	v_dual_fmac_f32 v1, v20, v52 :: v_dual_mul_f32 v20, v13, v57
	v_mul_f32_e32 v13, v13, v56
	v_fma_f32 v28, v28, 2.0, -v10
	s_delay_alu instid0(VALU_DEP_3)
	v_sub_f32_e32 v1, v66, v1
	v_mul_f32_e32 v21, v23, v54
	s_waitcnt lgkmcnt(1)
	v_mul_f32_e32 v23, v5, v61
	v_mul_f32_e32 v5, v5, v60
	v_fmac_f32_e32 v20, v12, v56
	v_fma_f32 v12, v12, v57, -v13
	v_fma_f32 v36, v66, 2.0, -v1
	v_fmac_f32_e32 v23, v4, v60
	v_fma_f32 v4, v4, v61, -v5
	v_sub_f32_e32 v20, v101, v20
	v_sub_f32_e32 v12, v16, v12
	s_delay_alu instid0(VALU_DEP_3) | instskip(NEXT) | instid1(VALU_DEP_3)
	v_sub_f32_e32 v4, v8, v4
	v_fma_f32 v37, v101, 2.0, -v20
	s_delay_alu instid0(VALU_DEP_3) | instskip(SKIP_1) | instid1(VALU_DEP_4)
	v_fma_f32 v16, v16, 2.0, -v12
	v_fmac_f32_e32 v3, v22, v54
	v_fma_f32 v8, v8, 2.0, -v4
	v_add_f32_e32 v4, v1, v4
	v_fma_f32 v21, v22, v55, -v21
	v_mul_f32_e32 v22, v15, v59
	s_delay_alu instid0(VALU_DEP_4) | instskip(NEXT) | instid1(VALU_DEP_2)
	v_dual_mul_f32 v15, v15, v58 :: v_dual_sub_f32 v8, v28, v8
	v_dual_sub_f32 v21, v29, v21 :: v_dual_fmac_f32 v22, v14, v58
	s_delay_alu instid0(VALU_DEP_2)
	v_fma_f32 v13, v14, v59, -v15
	s_waitcnt lgkmcnt(0)
	v_mul_f32_e32 v14, v7, v63
	v_mul_f32_e32 v7, v7, v62
	v_fma_f32 v28, v28, 2.0, -v8
	v_sub_f32_e32 v22, v30, v22
	v_fma_f32 v29, v29, 2.0, -v21
	v_fmac_f32_e32 v14, v6, v62
	v_fma_f32 v6, v6, v63, -v7
	s_delay_alu instid0(VALU_DEP_4) | instskip(SKIP_1) | instid1(VALU_DEP_4)
	v_fma_f32 v30, v30, 2.0, -v22
	v_sub_f32_e32 v22, v2, v22
	v_sub_f32_e32 v14, v19, v14
	s_delay_alu instid0(VALU_DEP_4) | instskip(NEXT) | instid1(VALU_DEP_2)
	v_sub_f32_e32 v6, v9, v6
	v_fma_f32 v19, v19, 2.0, -v14
	v_sub_f32_e32 v14, v21, v14
	v_sub_f32_e32 v23, v17, v23
	s_delay_alu instid0(VALU_DEP_4) | instskip(NEXT) | instid1(VALU_DEP_3)
	v_fma_f32 v9, v9, 2.0, -v6
	v_fma_f32 v21, v21, 2.0, -v14
	s_delay_alu instid0(VALU_DEP_3) | instskip(SKIP_3) | instid1(VALU_DEP_4)
	v_fma_f32 v17, v17, 2.0, -v23
	v_sub_f32_e32 v23, v10, v23
	v_mul_f32_e32 v15, v116, v64
	v_fmamk_f32 v43, v14, 0x3f3504f3, v22
	v_sub_f32_e32 v17, v36, v17
	s_delay_alu instid0(VALU_DEP_4) | instskip(NEXT) | instid1(VALU_DEP_4)
	v_fma_f32 v10, v10, 2.0, -v23
	v_fma_f32 v15, v115, v65, -v15
	s_delay_alu instid0(VALU_DEP_3) | instskip(NEXT) | instid1(VALU_DEP_2)
	v_fma_f32 v36, v36, 2.0, -v17
	v_sub_f32_e32 v15, v0, v15
	s_delay_alu instid0(VALU_DEP_1) | instskip(SKIP_1) | instid1(VALU_DEP_2)
	v_fma_f32 v0, v0, 2.0, -v15
	v_add_f32_e32 v15, v20, v15
	v_dual_sub_f32 v0, v16, v0 :: v_dual_sub_f32 v3, v67, v3
	s_delay_alu instid0(VALU_DEP_2) | instskip(NEXT) | instid1(VALU_DEP_2)
	v_fma_f32 v20, v20, 2.0, -v15
	v_fma_f32 v16, v16, 2.0, -v0
	v_dual_sub_f32 v13, v18, v13 :: v_dual_add_f32 v46, v17, v0
	v_fma_f32 v1, v1, 2.0, -v4
	v_dual_sub_f32 v7, v34, v31 :: v_dual_add_f32 v6, v3, v6
	s_delay_alu instid0(VALU_DEP_4) | instskip(NEXT) | instid1(VALU_DEP_4)
	v_sub_f32_e32 v16, v28, v16
	v_fma_f32 v18, v18, 2.0, -v13
	s_delay_alu instid0(VALU_DEP_3)
	v_add_f32_e32 v13, v7, v13
	v_fma_f32 v31, v34, 2.0, -v7
	v_fma_f32 v34, v35, 2.0, -v2
	;; [unrolled: 1-line block ×3, first 2 shown]
	v_fmac_f32_e32 v43, 0xbf3504f3, v6
	v_dual_fmamk_f32 v40, v6, 0x3f3504f3, v13 :: v_dual_mul_f32 v5, v116, v65
	s_delay_alu instid0(VALU_DEP_3) | instskip(SKIP_1) | instid1(VALU_DEP_3)
	v_dual_sub_f32 v30, v31, v30 :: v_dual_fmamk_f32 v39, v21, 0xbf3504f3, v2
	v_sub_f32_e32 v18, v34, v18
	v_dual_fmac_f32 v40, 0x3f3504f3, v14 :: v_dual_fmac_f32 v5, v115, v64
	s_delay_alu instid0(VALU_DEP_3) | instskip(SKIP_1) | instid1(VALU_DEP_4)
	v_fma_f32 v31, v31, 2.0, -v30
	v_fma_f32 v22, v22, 2.0, -v43
	;; [unrolled: 1-line block ×3, first 2 shown]
	v_mad_u64_u32 v[64:65], null, s4, v119, 0
	v_sub_f32_e32 v5, v11, v5
	s_delay_alu instid0(VALU_DEP_1) | instskip(NEXT) | instid1(VALU_DEP_1)
	v_fma_f32 v11, v11, 2.0, -v5
	v_sub_f32_e32 v11, v37, v11
	s_delay_alu instid0(VALU_DEP_1) | instskip(SKIP_3) | instid1(VALU_DEP_1)
	v_fma_f32 v37, v37, 2.0, -v11
	v_sub_f32_e32 v47, v8, v11
	v_fma_f32 v11, v17, 2.0, -v46
	v_sub_f32_e32 v9, v29, v9
	v_add_f32_e32 v41, v30, v9
	v_sub_f32_e32 v5, v12, v5
	v_fma_f32 v29, v29, 2.0, -v9
	s_delay_alu instid0(VALU_DEP_3) | instskip(NEXT) | instid1(VALU_DEP_3)
	v_fma_f32 v14, v30, 2.0, -v41
	v_fma_f32 v12, v12, 2.0, -v5
	v_fmamk_f32 v30, v20, 0xbf3504f3, v1
	v_fmamk_f32 v48, v5, 0x3f3504f3, v23
	v_fma_f32 v7, v7, 2.0, -v13
	s_delay_alu instid0(VALU_DEP_4) | instskip(NEXT) | instid1(VALU_DEP_4)
	v_fmamk_f32 v45, v12, 0xbf3504f3, v10
	v_fmac_f32_e32 v30, 0x3f3504f3, v12
	v_fma_f32 v35, v67, 2.0, -v3
	v_fma_f32 v3, v3, 2.0, -v6
	;; [unrolled: 1-line block ×3, first 2 shown]
	v_dual_fmac_f32 v48, 0xbf3504f3, v15 :: v_dual_sub_f32 v37, v36, v37
	s_delay_alu instid0(VALU_DEP_4) | instskip(NEXT) | instid1(VALU_DEP_4)
	v_sub_f32_e32 v19, v35, v19
	v_fmac_f32_e32 v39, 0xbf3504f3, v3
	v_fmamk_f32 v38, v3, 0xbf3504f3, v7
	v_fmac_f32_e32 v45, 0xbf3504f3, v20
	v_fma_f32 v3, v28, 2.0, -v16
	v_fma_f32 v35, v35, 2.0, -v19
	v_sub_f32_e32 v42, v18, v19
	v_fma_f32 v19, v2, 2.0, -v39
	v_fma_f32 v2, v36, 2.0, -v37
	v_fmamk_f32 v36, v15, 0x3f3504f3, v4
	v_dual_sub_f32 v35, v31, v35 :: v_dual_fmac_f32 v38, 0x3f3504f3, v21
	v_fma_f32 v9, v1, 2.0, -v30
	v_fma_f32 v6, v10, 2.0, -v45
	s_delay_alu instid0(VALU_DEP_4) | instskip(SKIP_3) | instid1(VALU_DEP_4)
	v_fmac_f32_e32 v36, 0x3f3504f3, v5
	v_sub_f32_e32 v29, v34, v29
	v_fma_f32 v21, v31, 2.0, -v35
	v_fma_f32 v18, v18, 2.0, -v42
	v_fmamk_f32 v28, v36, 0x3f6c835e, v40
	s_delay_alu instid0(VALU_DEP_4) | instskip(SKIP_4) | instid1(VALU_DEP_4)
	v_fma_f32 v31, v34, 2.0, -v29
	v_fma_f32 v34, v7, 2.0, -v38
	v_sub_f32_e32 v0, v21, v2
	v_fma_f32 v15, v4, 2.0, -v36
	v_fmamk_f32 v7, v12, 0xbf3504f3, v18
	v_dual_sub_f32 v1, v31, v3 :: v_dual_fmamk_f32 v2, v9, 0xbf6c835e, v34
	v_fmamk_f32 v3, v6, 0xbf6c835e, v19
	v_fmac_f32_e32 v28, 0x3ec3ef15, v48
	s_delay_alu instid0(VALU_DEP_4) | instskip(NEXT) | instid1(VALU_DEP_4)
	v_fmac_f32_e32 v7, 0xbf3504f3, v11
	v_dual_sub_f32 v17, v29, v37 :: v_dual_fmac_f32 v2, 0x3ec3ef15, v6
	v_fma_f32 v44, v13, 2.0, -v40
	v_fma_f32 v13, v23, 2.0, -v48
	v_fmac_f32_e32 v3, 0xbec3ef15, v9
	v_fmamk_f32 v6, v11, 0xbf3504f3, v14
	v_fma_f32 v4, v21, 2.0, -v0
	v_fmamk_f32 v8, v15, 0xbec3ef15, v44
	v_fmamk_f32 v9, v13, 0xbec3ef15, v22
	v_fma_f32 v11, v19, 2.0, -v3
	v_fmamk_f32 v19, v45, 0x3ec3ef15, v39
	v_fma_f32 v21, v29, 2.0, -v17
	v_fmac_f32_e32 v8, 0x3f6c835e, v13
	v_fmac_f32_e32 v9, 0xbf6c835e, v15
	v_fma_f32 v13, v18, 2.0, -v7
	v_fmamk_f32 v18, v30, 0x3ec3ef15, v38
	v_fmamk_f32 v23, v47, 0x3f3504f3, v42
	;; [unrolled: 1-line block ×3, first 2 shown]
	v_fma_f32 v15, v22, 2.0, -v9
	v_fmamk_f32 v22, v46, 0x3f3504f3, v41
	v_fmac_f32_e32 v6, 0x3f3504f3, v12
	v_fmac_f32_e32 v18, 0x3f6c835e, v45
	v_dual_add_f32 v16, v35, v16 :: v_dual_fmac_f32 v19, 0xbf6c835e, v30
	s_delay_alu instid0(VALU_DEP_4)
	v_fmac_f32_e32 v22, 0x3f3504f3, v47
	v_fmac_f32_e32 v23, 0xbf3504f3, v46
	;; [unrolled: 1-line block ×3, first 2 shown]
	v_fma_f32 v5, v31, 2.0, -v1
	v_fma_f32 v10, v34, 2.0, -v2
	v_fma_f32 v12, v14, 2.0, -v6
	v_fma_f32 v14, v44, 2.0, -v8
	v_fma_f32 v20, v35, 2.0, -v16
	v_fma_f32 v30, v38, 2.0, -v18
	v_fma_f32 v31, v39, 2.0, -v19
	v_fma_f32 v34, v41, 2.0, -v22
	v_fma_f32 v35, v42, 2.0, -v23
	v_fma_f32 v36, v40, 2.0, -v28
	v_fma_f32 v37, v43, 2.0, -v29
	ds_store_2addr_b64 v121, v[4:5], v[10:11] offset1:80
	ds_store_2addr_b64 v121, v[12:13], v[14:15] offset0:160 offset1:240
	ds_store_2addr_b64 v33, v[20:21], v[30:31] offset0:64 offset1:144
	;; [unrolled: 1-line block ×7, first 2 shown]
	s_waitcnt lgkmcnt(0)
	s_barrier
	buffer_gl0_inv
	ds_load_2addr_b64 v[0:3], v121 offset1:80
	v_mad_u64_u32 v[30:31], null, s4, v120, 0
	s_waitcnt lgkmcnt(0)
	v_mul_f32_e32 v4, v100, v1
	v_mul_f32_e32 v5, v100, v0
	v_mul_f32_e32 v16, v96, v3
	v_mul_f32_e32 v14, v96, v2
	s_delay_alu instid0(VALU_DEP_4) | instskip(NEXT) | instid1(VALU_DEP_4)
	v_fmac_f32_e32 v4, v99, v0
	v_fma_f32 v5, v99, v1, -v5
	s_delay_alu instid0(VALU_DEP_4) | instskip(NEXT) | instid1(VALU_DEP_4)
	v_fmac_f32_e32 v16, v95, v2
	v_fma_f32 v2, v95, v3, -v14
	s_delay_alu instid0(VALU_DEP_4) | instskip(NEXT) | instid1(VALU_DEP_4)
	v_cvt_f64_f32_e32 v[0:1], v4
	v_cvt_f64_f32_e32 v[12:13], v5
	ds_load_2addr_b64 v[4:7], v121 offset0:160 offset1:240
	ds_load_2addr_b64 v[8:11], v33 offset0:64 offset1:144
	v_cvt_f64_f32_e32 v[18:19], v2
	v_cvt_f64_f32_e32 v[16:17], v16
	s_waitcnt lgkmcnt(1)
	v_mul_f32_e32 v3, v92, v5
	s_waitcnt lgkmcnt(0)
	v_mul_f32_e32 v28, v94, v9
	s_delay_alu instid0(VALU_DEP_2) | instskip(NEXT) | instid1(VALU_DEP_2)
	v_dual_mul_f32 v2, v90, v6 :: v_dual_fmac_f32 v3, v91, v4
	v_fmac_f32_e32 v28, v93, v8
	s_delay_alu instid0(VALU_DEP_2) | instskip(NEXT) | instid1(VALU_DEP_3)
	v_fma_f32 v2, v89, v7, -v2
	v_cvt_f64_f32_e32 v[20:21], v3
	v_mul_f32_e32 v3, v94, v8
	s_delay_alu instid0(VALU_DEP_3)
	v_cvt_f64_f32_e32 v[22:23], v2
	v_cvt_f64_f32_e32 v[28:29], v28
	v_mul_f64 v[14:15], v[0:1], s[0:1]
	v_dual_mul_f32 v0, v92, v4 :: v_dual_mul_f32 v1, v90, v7
	v_mul_f64 v[12:13], v[12:13], s[0:1]
	v_mul_f64 v[16:17], v[16:17], s[0:1]
	s_delay_alu instid0(VALU_DEP_3) | instskip(NEXT) | instid1(VALU_DEP_4)
	v_fma_f32 v0, v91, v5, -v0
	v_fmac_f32_e32 v1, v89, v6
	s_delay_alu instid0(VALU_DEP_2) | instskip(SKIP_2) | instid1(VALU_DEP_4)
	v_cvt_f64_f32_e32 v[4:5], v0
	v_fma_f32 v0, v93, v9, -v3
	v_mad_u64_u32 v[8:9], null, s6, v70, 0
	v_cvt_f64_f32_e32 v[6:7], v1
	v_mov_b32_e32 v1, v31
	s_delay_alu instid0(VALU_DEP_4) | instskip(NEXT) | instid1(VALU_DEP_4)
	v_cvt_f64_f32_e32 v[33:34], v0
	v_mov_b32_e32 v0, v9
	s_delay_alu instid0(VALU_DEP_1)
	v_mad_u64_u32 v[35:36], null, s7, v70, v[0:1]
	v_mad_u64_u32 v[36:37], null, s5, v120, v[1:2]
	ds_load_2addr_b64 v[0:3], v32 offset0:96 offset1:176
	v_mul_f32_e32 v32, v88, v11
	v_mul_f64 v[20:21], v[20:21], s[0:1]
	v_mul_f64 v[22:23], v[22:23], s[0:1]
	v_mov_b32_e32 v9, v35
	v_mul_f64 v[28:29], v[28:29], s[0:1]
	v_dual_mov_b32 v31, v36 :: v_dual_fmac_f32 v32, v87, v10
	v_mul_f32_e32 v10, v88, v10
	s_delay_alu instid0(VALU_DEP_4)
	v_lshlrev_b64 v[8:9], 3, v[8:9]
	v_cvt_f32_f64_e32 v14, v[14:15]
	v_cvt_f32_f64_e32 v15, v[12:13]
	v_mul_f64 v[12:13], v[18:19], s[0:1]
	v_fma_f32 v10, v87, v11, -v10
	v_lshlrev_b64 v[18:19], 3, v[30:31]
	v_add_co_u32 v70, vcc_lo, s2, v8
	v_cvt_f32_f64_e32 v16, v[16:17]
	s_delay_alu instid0(VALU_DEP_4)
	v_cvt_f64_f32_e32 v[10:11], v10
	v_mul_f64 v[4:5], v[4:5], s[0:1]
	s_waitcnt lgkmcnt(0)
	v_mul_f32_e32 v35, v86, v1
	v_mul_f32_e32 v36, v86, v0
	;; [unrolled: 1-line block ×3, first 2 shown]
	v_mul_f64 v[6:7], v[6:7], s[0:1]
	s_mul_i32 s2, s5, 0x280
	v_fmac_f32_e32 v35, v85, v0
	v_fma_f32 v0, v85, v1, -v36
	v_mul_f32_e32 v1, v98, v3
	v_add_co_ci_u32_e32 v85, vcc_lo, s3, v9, vcc_lo
	v_mul_f64 v[30:31], v[33:34], s[0:1]
	s_delay_alu instid0(VALU_DEP_4) | instskip(NEXT) | instid1(VALU_DEP_4)
	v_cvt_f64_f32_e32 v[36:37], v0
	v_fmac_f32_e32 v1, v97, v2
	v_fma_f32 v0, v97, v3, -v38
	v_cvt_f64_f32_e32 v[32:33], v32
	v_cvt_f64_f32_e32 v[34:35], v35
	v_add_co_u32 v18, vcc_lo, v70, v18
	v_cvt_f64_f32_e32 v[8:9], v1
	v_cvt_f64_f32_e32 v[38:39], v0
	ds_load_2addr_b64 v[0:3], v27 offset0:128 offset1:208
	v_cvt_f32_f64_e32 v20, v[20:21]
	v_cvt_f32_f64_e32 v43, v[22:23]
	s_mul_hi_u32 s3, s4, 0x280
	v_add_co_ci_u32_e32 v19, vcc_lo, v85, v19, vcc_lo
	s_add_i32 s2, s3, s2
	s_mul_i32 s3, s4, 0x280
	v_cvt_f32_f64_e32 v17, v[12:13]
	v_add_co_u32 v12, vcc_lo, v18, s3
	v_add_co_ci_u32_e32 v13, vcc_lo, s2, v19, vcc_lo
	s_delay_alu instid0(VALU_DEP_2) | instskip(SKIP_1) | instid1(VALU_DEP_3)
	v_add_co_u32 v40, vcc_lo, v12, s3
	v_cvt_f32_f64_e32 v21, v[4:5]
	v_add_co_ci_u32_e32 v41, vcc_lo, s2, v13, vcc_lo
	s_waitcnt lgkmcnt(0)
	v_mul_f32_e32 v44, v72, v1
	v_cvt_f32_f64_e32 v42, v[6:7]
	ds_load_2addr_b64 v[4:7], v26 offset0:32 offset1:112
	v_cvt_f32_f64_e32 v26, v[28:29]
	v_add_co_u32 v22, vcc_lo, v40, s3
	v_fmac_f32_e32 v44, v71, v0
	v_mul_f32_e32 v0, v72, v0
	v_cvt_f32_f64_e32 v27, v[30:31]
	v_mul_f64 v[30:31], v[10:11], s[0:1]
	v_add_co_ci_u32_e32 v23, vcc_lo, s2, v41, vcc_lo
	v_cvt_f64_f32_e32 v[44:45], v44
	v_mul_f64 v[28:29], v[32:33], s[0:1]
	v_mul_f64 v[32:33], v[34:35], s[0:1]
	;; [unrolled: 1-line block ×4, first 2 shown]
	ds_load_2addr_b64 v[8:11], v25 offset0:64 offset1:144
	v_mul_f32_e32 v25, v84, v3
	v_fma_f32 v0, v71, v1, -v0
	v_mul_f32_e32 v1, v84, v2
	v_mul_f64 v[38:39], v[38:39], s[0:1]
	s_waitcnt lgkmcnt(1)
	v_dual_mul_f32 v48, v82, v5 :: v_dual_fmac_f32 v25, v83, v2
	v_cvt_f64_f32_e32 v[46:47], v0
	v_fma_f32 v50, v83, v3, -v1
	ds_load_2addr_b64 v[0:3], v24 offset0:96 offset1:176
	v_mul_f32_e32 v49, v82, v4
	v_mul_f32_e32 v52, v74, v7
	v_dual_mul_f32 v53, v74, v6 :: v_dual_fmac_f32 v48, v81, v4
	v_add_co_u32 v62, vcc_lo, v22, s3
	s_delay_alu instid0(VALU_DEP_4)
	v_fma_f32 v51, v81, v5, -v49
	v_cvt_f64_f32_e32 v[4:5], v25
	v_cvt_f64_f32_e32 v[24:25], v50
	v_fmac_f32_e32 v52, v73, v6
	s_waitcnt lgkmcnt(1)
	v_mul_f32_e32 v56, v69, v11
	v_mul_f32_e32 v54, v76, v9
	;; [unrolled: 1-line block ×3, first 2 shown]
	v_fma_f32 v53, v73, v7, -v53
	v_cvt_f64_f32_e32 v[48:49], v48
	v_fmac_f32_e32 v56, v68, v10
	v_mul_f32_e32 v10, v69, v10
	v_fmac_f32_e32 v54, v75, v8
	v_fma_f32 v55, v75, v9, -v55
	s_waitcnt lgkmcnt(0)
	v_mul_f32_e32 v58, v78, v1
	v_dual_mul_f32 v59, v78, v0 :: v_dual_mul_f32 v60, v80, v3
	v_mul_f32_e32 v61, v80, v2
	v_mul_f64 v[44:45], v[44:45], s[0:1]
	v_fma_f32 v10, v68, v11, -v10
	v_fmac_f32_e32 v58, v77, v0
	v_fma_f32 v11, v77, v1, -v59
	v_cvt_f64_f32_e32 v[50:51], v51
	v_fmac_f32_e32 v60, v79, v2
	v_fma_f32 v61, v79, v3, -v61
	v_cvt_f64_f32_e32 v[6:7], v52
	v_cvt_f64_f32_e32 v[8:9], v53
	;; [unrolled: 1-line block ×10, first 2 shown]
	v_cvt_f32_f64_e32 v32, v[32:33]
	v_cvt_f32_f64_e32 v33, v[34:35]
	v_mul_f64 v[34:35], v[46:47], s[0:1]
	v_add_co_ci_u32_e32 v63, vcc_lo, s2, v23, vcc_lo
	s_clause 0x4
	global_store_b64 v[18:19], v[14:15], off
	global_store_b64 v[12:13], v[16:17], off
	;; [unrolled: 1-line block ×5, first 2 shown]
	v_mov_b32_e32 v12, v65
	v_mul_f64 v[4:5], v[4:5], s[0:1]
	v_mul_f64 v[24:25], v[24:25], s[0:1]
	v_cvt_f32_f64_e32 v28, v[28:29]
	v_cvt_f32_f64_e32 v29, v[30:31]
	v_add_co_u32 v30, vcc_lo, v62, s3
	v_mul_f64 v[48:49], v[48:49], s[0:1]
	v_add_co_ci_u32_e32 v31, vcc_lo, s2, v63, vcc_lo
	s_delay_alu instid0(VALU_DEP_3) | instskip(SKIP_1) | instid1(VALU_DEP_3)
	v_add_co_u32 v46, vcc_lo, v30, s3
	v_cvt_f32_f64_e32 v36, v[36:37]
	v_add_co_ci_u32_e32 v47, vcc_lo, s2, v31, vcc_lo
	v_cvt_f32_f64_e32 v13, v[44:45]
	v_cvt_f32_f64_e32 v37, v[38:39]
	v_add_co_u32 v38, vcc_lo, v46, s3
	v_mul_f64 v[50:51], v[50:51], s[0:1]
	v_add_co_ci_u32_e32 v39, vcc_lo, s2, v47, vcc_lo
	v_mul_f64 v[6:7], v[6:7], s[0:1]
	v_mul_f64 v[8:9], v[8:9], s[0:1]
	;; [unrolled: 1-line block ×10, first 2 shown]
	v_mad_u64_u32 v[66:67], null, 0x500, s4, v[38:39]
	v_cvt_f32_f64_e32 v14, v[34:35]
	global_store_b64 v[30:31], v[28:29], off
	global_store_b64 v[46:47], v[32:33], off
	;; [unrolled: 1-line block ×3, first 2 shown]
	v_mad_u64_u32 v[16:17], null, s5, v119, v[12:13]
	v_mov_b32_e32 v15, v67
	v_cvt_f32_f64_e32 v4, v[4:5]
	v_cvt_f32_f64_e32 v5, v[24:25]
	v_add_co_u32 v19, vcc_lo, v66, s3
	v_cvt_f32_f64_e32 v6, v[6:7]
	v_mad_u64_u32 v[17:18], null, 0x500, s5, v[15:16]
	v_mov_b32_e32 v65, v16
	v_cvt_f32_f64_e32 v15, v[48:49]
	v_cvt_f32_f64_e32 v16, v[50:51]
	;; [unrolled: 1-line block ×5, first 2 shown]
	v_mov_b32_e32 v67, v17
	v_cvt_f32_f64_e32 v17, v[56:57]
	v_cvt_f32_f64_e32 v18, v[0:1]
	;; [unrolled: 1-line block ×6, first 2 shown]
	v_lshlrev_b64 v[10:11], 3, v[64:65]
	v_add_co_ci_u32_e32 v20, vcc_lo, s2, v67, vcc_lo
	s_delay_alu instid0(VALU_DEP_2) | instskip(NEXT) | instid1(VALU_DEP_3)
	v_add_co_u32 v10, vcc_lo, v70, v10
	v_add_co_ci_u32_e32 v11, vcc_lo, v85, v11, vcc_lo
	v_add_co_u32 v21, vcc_lo, v19, s3
	s_delay_alu instid0(VALU_DEP_4)
	v_add_co_ci_u32_e32 v22, vcc_lo, s2, v20, vcc_lo
	global_store_b64 v[10:11], v[13:14], off
	v_add_co_u32 v10, vcc_lo, v21, s3
	v_add_co_ci_u32_e32 v11, vcc_lo, s2, v22, vcc_lo
	global_store_b64 v[66:67], v[4:5], off
	v_add_co_u32 v12, vcc_lo, v10, s3
	v_add_co_ci_u32_e32 v13, vcc_lo, s2, v11, vcc_lo
	s_delay_alu instid0(VALU_DEP_2) | instskip(NEXT) | instid1(VALU_DEP_2)
	v_add_co_u32 v4, vcc_lo, v12, s3
	v_add_co_ci_u32_e32 v5, vcc_lo, s2, v13, vcc_lo
	global_store_b64 v[19:20], v[15:16], off
	v_add_co_u32 v14, vcc_lo, v4, s3
	v_add_co_ci_u32_e32 v15, vcc_lo, s2, v5, vcc_lo
	global_store_b64 v[21:22], v[6:7], off
	global_store_b64 v[10:11], v[8:9], off
	;; [unrolled: 1-line block ×5, first 2 shown]
.LBB0_10:
	s_nop 0
	s_sendmsg sendmsg(MSG_DEALLOC_VGPRS)
	s_endpgm
	.section	.rodata,"a",@progbits
	.p2align	6, 0x0
	.amdhsa_kernel bluestein_single_back_len1280_dim1_sp_op_CI_CI
		.amdhsa_group_segment_fixed_size 10240
		.amdhsa_private_segment_fixed_size 0
		.amdhsa_kernarg_size 104
		.amdhsa_user_sgpr_count 15
		.amdhsa_user_sgpr_dispatch_ptr 0
		.amdhsa_user_sgpr_queue_ptr 0
		.amdhsa_user_sgpr_kernarg_segment_ptr 1
		.amdhsa_user_sgpr_dispatch_id 0
		.amdhsa_user_sgpr_private_segment_size 0
		.amdhsa_wavefront_size32 1
		.amdhsa_uses_dynamic_stack 0
		.amdhsa_enable_private_segment 0
		.amdhsa_system_sgpr_workgroup_id_x 1
		.amdhsa_system_sgpr_workgroup_id_y 0
		.amdhsa_system_sgpr_workgroup_id_z 0
		.amdhsa_system_sgpr_workgroup_info 0
		.amdhsa_system_vgpr_workitem_id 0
		.amdhsa_next_free_vgpr 171
		.amdhsa_next_free_sgpr 20
		.amdhsa_reserve_vcc 1
		.amdhsa_float_round_mode_32 0
		.amdhsa_float_round_mode_16_64 0
		.amdhsa_float_denorm_mode_32 3
		.amdhsa_float_denorm_mode_16_64 3
		.amdhsa_dx10_clamp 1
		.amdhsa_ieee_mode 1
		.amdhsa_fp16_overflow 0
		.amdhsa_workgroup_processor_mode 1
		.amdhsa_memory_ordered 1
		.amdhsa_forward_progress 0
		.amdhsa_shared_vgpr_count 0
		.amdhsa_exception_fp_ieee_invalid_op 0
		.amdhsa_exception_fp_denorm_src 0
		.amdhsa_exception_fp_ieee_div_zero 0
		.amdhsa_exception_fp_ieee_overflow 0
		.amdhsa_exception_fp_ieee_underflow 0
		.amdhsa_exception_fp_ieee_inexact 0
		.amdhsa_exception_int_div_zero 0
	.end_amdhsa_kernel
	.text
.Lfunc_end0:
	.size	bluestein_single_back_len1280_dim1_sp_op_CI_CI, .Lfunc_end0-bluestein_single_back_len1280_dim1_sp_op_CI_CI
                                        ; -- End function
	.section	.AMDGPU.csdata,"",@progbits
; Kernel info:
; codeLenInByte = 13416
; NumSgprs: 22
; NumVgprs: 171
; ScratchSize: 0
; MemoryBound: 0
; FloatMode: 240
; IeeeMode: 1
; LDSByteSize: 10240 bytes/workgroup (compile time only)
; SGPRBlocks: 2
; VGPRBlocks: 21
; NumSGPRsForWavesPerEU: 22
; NumVGPRsForWavesPerEU: 171
; Occupancy: 8
; WaveLimiterHint : 1
; COMPUTE_PGM_RSRC2:SCRATCH_EN: 0
; COMPUTE_PGM_RSRC2:USER_SGPR: 15
; COMPUTE_PGM_RSRC2:TRAP_HANDLER: 0
; COMPUTE_PGM_RSRC2:TGID_X_EN: 1
; COMPUTE_PGM_RSRC2:TGID_Y_EN: 0
; COMPUTE_PGM_RSRC2:TGID_Z_EN: 0
; COMPUTE_PGM_RSRC2:TIDIG_COMP_CNT: 0
	.text
	.p2alignl 7, 3214868480
	.fill 96, 4, 3214868480
	.type	__hip_cuid_d785739de9474d1b,@object ; @__hip_cuid_d785739de9474d1b
	.section	.bss,"aw",@nobits
	.globl	__hip_cuid_d785739de9474d1b
__hip_cuid_d785739de9474d1b:
	.byte	0                               ; 0x0
	.size	__hip_cuid_d785739de9474d1b, 1

	.ident	"AMD clang version 19.0.0git (https://github.com/RadeonOpenCompute/llvm-project roc-6.4.0 25133 c7fe45cf4b819c5991fe208aaa96edf142730f1d)"
	.section	".note.GNU-stack","",@progbits
	.addrsig
	.addrsig_sym __hip_cuid_d785739de9474d1b
	.amdgpu_metadata
---
amdhsa.kernels:
  - .args:
      - .actual_access:  read_only
        .address_space:  global
        .offset:         0
        .size:           8
        .value_kind:     global_buffer
      - .actual_access:  read_only
        .address_space:  global
        .offset:         8
        .size:           8
        .value_kind:     global_buffer
      - .actual_access:  read_only
        .address_space:  global
        .offset:         16
        .size:           8
        .value_kind:     global_buffer
      - .actual_access:  read_only
        .address_space:  global
        .offset:         24
        .size:           8
        .value_kind:     global_buffer
      - .actual_access:  read_only
        .address_space:  global
        .offset:         32
        .size:           8
        .value_kind:     global_buffer
      - .offset:         40
        .size:           8
        .value_kind:     by_value
      - .address_space:  global
        .offset:         48
        .size:           8
        .value_kind:     global_buffer
      - .address_space:  global
        .offset:         56
        .size:           8
        .value_kind:     global_buffer
      - .address_space:  global
        .offset:         64
        .size:           8
        .value_kind:     global_buffer
      - .address_space:  global
        .offset:         72
        .size:           8
        .value_kind:     global_buffer
      - .offset:         80
        .size:           4
        .value_kind:     by_value
      - .address_space:  global
        .offset:         88
        .size:           8
        .value_kind:     global_buffer
      - .address_space:  global
        .offset:         96
        .size:           8
        .value_kind:     global_buffer
    .group_segment_fixed_size: 10240
    .kernarg_segment_align: 8
    .kernarg_segment_size: 104
    .language:       OpenCL C
    .language_version:
      - 2
      - 0
    .max_flat_workgroup_size: 80
    .name:           bluestein_single_back_len1280_dim1_sp_op_CI_CI
    .private_segment_fixed_size: 0
    .sgpr_count:     22
    .sgpr_spill_count: 0
    .symbol:         bluestein_single_back_len1280_dim1_sp_op_CI_CI.kd
    .uniform_work_group_size: 1
    .uses_dynamic_stack: false
    .vgpr_count:     171
    .vgpr_spill_count: 0
    .wavefront_size: 32
    .workgroup_processor_mode: 1
amdhsa.target:   amdgcn-amd-amdhsa--gfx1100
amdhsa.version:
  - 1
  - 2
...

	.end_amdgpu_metadata
